;; amdgpu-corpus repo=ROCm/rocFFT kind=compiled arch=gfx1201 opt=O3
	.text
	.amdgcn_target "amdgcn-amd-amdhsa--gfx1201"
	.amdhsa_code_object_version 6
	.protected	fft_rtc_back_len663_factors_17_13_3_wgs_51_tpt_51_dp_op_CI_CI_sbrr_dirReg ; -- Begin function fft_rtc_back_len663_factors_17_13_3_wgs_51_tpt_51_dp_op_CI_CI_sbrr_dirReg
	.globl	fft_rtc_back_len663_factors_17_13_3_wgs_51_tpt_51_dp_op_CI_CI_sbrr_dirReg
	.p2align	8
	.type	fft_rtc_back_len663_factors_17_13_3_wgs_51_tpt_51_dp_op_CI_CI_sbrr_dirReg,@function
fft_rtc_back_len663_factors_17_13_3_wgs_51_tpt_51_dp_op_CI_CI_sbrr_dirReg: ; @fft_rtc_back_len663_factors_17_13_3_wgs_51_tpt_51_dp_op_CI_CI_sbrr_dirReg
; %bb.0:
	s_clause 0x2
	s_load_b128 s[12:15], s[0:1], 0x18
	s_load_b128 s[4:7], s[0:1], 0x0
	;; [unrolled: 1-line block ×3, first 2 shown]
	v_mul_u32_u24_e32 v1, 0x506, v0
	v_mov_b32_e32 v3, 0
	s_wait_kmcnt 0x0
	s_load_b64 s[18:19], s[12:13], 0x0
	s_load_b64 s[16:17], s[14:15], 0x0
	v_lshrrev_b32_e32 v1, 16, v1
	v_cmp_lt_u64_e64 s2, s[6:7], 2
	s_delay_alu instid0(VALU_DEP_2)
	v_add_nc_u32_e32 v5, ttmp9, v1
	v_mov_b32_e32 v1, 0
	v_mov_b32_e32 v2, 0
	;; [unrolled: 1-line block ×3, first 2 shown]
	s_and_b32 vcc_lo, exec_lo, s2
	s_cbranch_vccnz .LBB0_8
; %bb.1:
	s_load_b64 s[2:3], s[0:1], 0x10
	v_mov_b32_e32 v1, 0
	v_mov_b32_e32 v2, 0
	s_add_nc_u64 s[20:21], s[14:15], 8
	s_add_nc_u64 s[22:23], s[12:13], 8
	s_mov_b64 s[24:25], 1
	s_delay_alu instid0(VALU_DEP_1)
	v_dual_mov_b32 v77, v2 :: v_dual_mov_b32 v76, v1
	s_wait_kmcnt 0x0
	s_add_nc_u64 s[26:27], s[2:3], 8
	s_mov_b32 s3, 0
.LBB0_2:                                ; =>This Inner Loop Header: Depth=1
	s_load_b64 s[28:29], s[26:27], 0x0
                                        ; implicit-def: $vgpr78_vgpr79
	s_mov_b32 s2, exec_lo
	s_wait_kmcnt 0x0
	v_or_b32_e32 v4, s29, v6
	s_delay_alu instid0(VALU_DEP_1)
	v_cmpx_ne_u64_e32 0, v[3:4]
	s_wait_alu 0xfffe
	s_xor_b32 s30, exec_lo, s2
	s_cbranch_execz .LBB0_4
; %bb.3:                                ;   in Loop: Header=BB0_2 Depth=1
	s_cvt_f32_u32 s2, s28
	s_cvt_f32_u32 s31, s29
	s_sub_nc_u64 s[36:37], 0, s[28:29]
	s_wait_alu 0xfffe
	s_delay_alu instid0(SALU_CYCLE_1) | instskip(SKIP_1) | instid1(SALU_CYCLE_2)
	s_fmamk_f32 s2, s31, 0x4f800000, s2
	s_wait_alu 0xfffe
	v_s_rcp_f32 s2, s2
	s_delay_alu instid0(TRANS32_DEP_1) | instskip(SKIP_1) | instid1(SALU_CYCLE_2)
	s_mul_f32 s2, s2, 0x5f7ffffc
	s_wait_alu 0xfffe
	s_mul_f32 s31, s2, 0x2f800000
	s_wait_alu 0xfffe
	s_delay_alu instid0(SALU_CYCLE_2) | instskip(SKIP_1) | instid1(SALU_CYCLE_2)
	s_trunc_f32 s31, s31
	s_wait_alu 0xfffe
	s_fmamk_f32 s2, s31, 0xcf800000, s2
	s_cvt_u32_f32 s35, s31
	s_wait_alu 0xfffe
	s_delay_alu instid0(SALU_CYCLE_1) | instskip(SKIP_1) | instid1(SALU_CYCLE_2)
	s_cvt_u32_f32 s34, s2
	s_wait_alu 0xfffe
	s_mul_u64 s[38:39], s[36:37], s[34:35]
	s_wait_alu 0xfffe
	s_mul_hi_u32 s41, s34, s39
	s_mul_i32 s40, s34, s39
	s_mul_hi_u32 s2, s34, s38
	s_mul_i32 s33, s35, s38
	s_wait_alu 0xfffe
	s_add_nc_u64 s[40:41], s[2:3], s[40:41]
	s_mul_hi_u32 s31, s35, s38
	s_mul_hi_u32 s42, s35, s39
	s_add_co_u32 s2, s40, s33
	s_wait_alu 0xfffe
	s_add_co_ci_u32 s2, s41, s31
	s_mul_i32 s38, s35, s39
	s_add_co_ci_u32 s39, s42, 0
	s_wait_alu 0xfffe
	s_add_nc_u64 s[38:39], s[2:3], s[38:39]
	s_wait_alu 0xfffe
	v_add_co_u32 v4, s2, s34, s38
	s_delay_alu instid0(VALU_DEP_1) | instskip(SKIP_1) | instid1(VALU_DEP_1)
	s_cmp_lg_u32 s2, 0
	s_add_co_ci_u32 s35, s35, s39
	v_readfirstlane_b32 s34, v4
	s_wait_alu 0xfffe
	s_delay_alu instid0(VALU_DEP_1)
	s_mul_u64 s[36:37], s[36:37], s[34:35]
	s_wait_alu 0xfffe
	s_mul_hi_u32 s39, s34, s37
	s_mul_i32 s38, s34, s37
	s_mul_hi_u32 s2, s34, s36
	s_mul_i32 s33, s35, s36
	s_wait_alu 0xfffe
	s_add_nc_u64 s[38:39], s[2:3], s[38:39]
	s_mul_hi_u32 s31, s35, s36
	s_mul_hi_u32 s34, s35, s37
	s_wait_alu 0xfffe
	s_add_co_u32 s2, s38, s33
	s_add_co_ci_u32 s2, s39, s31
	s_mul_i32 s36, s35, s37
	s_add_co_ci_u32 s37, s34, 0
	s_wait_alu 0xfffe
	s_add_nc_u64 s[36:37], s[2:3], s[36:37]
	s_wait_alu 0xfffe
	v_add_co_u32 v4, s2, v4, s36
	s_delay_alu instid0(VALU_DEP_1) | instskip(SKIP_1) | instid1(VALU_DEP_1)
	s_cmp_lg_u32 s2, 0
	s_add_co_ci_u32 s2, s35, s37
	v_mul_hi_u32 v13, v5, v4
	s_wait_alu 0xfffe
	v_mad_co_u64_u32 v[7:8], null, v5, s2, 0
	v_mad_co_u64_u32 v[9:10], null, v6, v4, 0
	;; [unrolled: 1-line block ×3, first 2 shown]
	s_delay_alu instid0(VALU_DEP_3) | instskip(SKIP_1) | instid1(VALU_DEP_4)
	v_add_co_u32 v4, vcc_lo, v13, v7
	s_wait_alu 0xfffd
	v_add_co_ci_u32_e32 v7, vcc_lo, 0, v8, vcc_lo
	s_delay_alu instid0(VALU_DEP_2) | instskip(SKIP_1) | instid1(VALU_DEP_2)
	v_add_co_u32 v4, vcc_lo, v4, v9
	s_wait_alu 0xfffd
	v_add_co_ci_u32_e32 v4, vcc_lo, v7, v10, vcc_lo
	s_wait_alu 0xfffd
	v_add_co_ci_u32_e32 v7, vcc_lo, 0, v12, vcc_lo
	s_delay_alu instid0(VALU_DEP_2) | instskip(SKIP_1) | instid1(VALU_DEP_2)
	v_add_co_u32 v4, vcc_lo, v4, v11
	s_wait_alu 0xfffd
	v_add_co_ci_u32_e32 v9, vcc_lo, 0, v7, vcc_lo
	s_delay_alu instid0(VALU_DEP_2) | instskip(SKIP_1) | instid1(VALU_DEP_3)
	v_mul_lo_u32 v10, s29, v4
	v_mad_co_u64_u32 v[7:8], null, s28, v4, 0
	v_mul_lo_u32 v11, s28, v9
	s_delay_alu instid0(VALU_DEP_2) | instskip(NEXT) | instid1(VALU_DEP_2)
	v_sub_co_u32 v7, vcc_lo, v5, v7
	v_add3_u32 v8, v8, v11, v10
	s_delay_alu instid0(VALU_DEP_1) | instskip(SKIP_1) | instid1(VALU_DEP_1)
	v_sub_nc_u32_e32 v10, v6, v8
	s_wait_alu 0xfffd
	v_subrev_co_ci_u32_e64 v10, s2, s29, v10, vcc_lo
	v_add_co_u32 v11, s2, v4, 2
	s_wait_alu 0xf1ff
	v_add_co_ci_u32_e64 v12, s2, 0, v9, s2
	v_sub_co_u32 v13, s2, v7, s28
	v_sub_co_ci_u32_e32 v8, vcc_lo, v6, v8, vcc_lo
	s_wait_alu 0xf1ff
	v_subrev_co_ci_u32_e64 v10, s2, 0, v10, s2
	s_delay_alu instid0(VALU_DEP_3) | instskip(NEXT) | instid1(VALU_DEP_3)
	v_cmp_le_u32_e32 vcc_lo, s28, v13
	v_cmp_eq_u32_e64 s2, s29, v8
	s_wait_alu 0xfffd
	v_cndmask_b32_e64 v13, 0, -1, vcc_lo
	v_cmp_le_u32_e32 vcc_lo, s29, v10
	s_wait_alu 0xfffd
	v_cndmask_b32_e64 v14, 0, -1, vcc_lo
	v_cmp_le_u32_e32 vcc_lo, s28, v7
	;; [unrolled: 3-line block ×3, first 2 shown]
	s_wait_alu 0xfffd
	v_cndmask_b32_e64 v15, 0, -1, vcc_lo
	v_cmp_eq_u32_e32 vcc_lo, s29, v10
	s_wait_alu 0xf1ff
	s_delay_alu instid0(VALU_DEP_2)
	v_cndmask_b32_e64 v7, v15, v7, s2
	s_wait_alu 0xfffd
	v_cndmask_b32_e32 v10, v14, v13, vcc_lo
	v_add_co_u32 v13, vcc_lo, v4, 1
	s_wait_alu 0xfffd
	v_add_co_ci_u32_e32 v14, vcc_lo, 0, v9, vcc_lo
	s_delay_alu instid0(VALU_DEP_3) | instskip(SKIP_1) | instid1(VALU_DEP_2)
	v_cmp_ne_u32_e32 vcc_lo, 0, v10
	s_wait_alu 0xfffd
	v_cndmask_b32_e32 v8, v14, v12, vcc_lo
	v_cndmask_b32_e32 v10, v13, v11, vcc_lo
	v_cmp_ne_u32_e32 vcc_lo, 0, v7
	s_wait_alu 0xfffd
	s_delay_alu instid0(VALU_DEP_2)
	v_dual_cndmask_b32 v79, v9, v8 :: v_dual_cndmask_b32 v78, v4, v10
.LBB0_4:                                ;   in Loop: Header=BB0_2 Depth=1
	s_wait_alu 0xfffe
	s_and_not1_saveexec_b32 s2, s30
	s_cbranch_execz .LBB0_6
; %bb.5:                                ;   in Loop: Header=BB0_2 Depth=1
	v_cvt_f32_u32_e32 v4, s28
	s_sub_co_i32 s30, 0, s28
	v_mov_b32_e32 v79, v3
	s_delay_alu instid0(VALU_DEP_2) | instskip(NEXT) | instid1(TRANS32_DEP_1)
	v_rcp_iflag_f32_e32 v4, v4
	v_mul_f32_e32 v4, 0x4f7ffffe, v4
	s_delay_alu instid0(VALU_DEP_1) | instskip(SKIP_1) | instid1(VALU_DEP_1)
	v_cvt_u32_f32_e32 v4, v4
	s_wait_alu 0xfffe
	v_mul_lo_u32 v7, s30, v4
	s_delay_alu instid0(VALU_DEP_1) | instskip(NEXT) | instid1(VALU_DEP_1)
	v_mul_hi_u32 v7, v4, v7
	v_add_nc_u32_e32 v4, v4, v7
	s_delay_alu instid0(VALU_DEP_1) | instskip(NEXT) | instid1(VALU_DEP_1)
	v_mul_hi_u32 v4, v5, v4
	v_mul_lo_u32 v7, v4, s28
	v_add_nc_u32_e32 v8, 1, v4
	s_delay_alu instid0(VALU_DEP_2) | instskip(NEXT) | instid1(VALU_DEP_1)
	v_sub_nc_u32_e32 v7, v5, v7
	v_subrev_nc_u32_e32 v9, s28, v7
	v_cmp_le_u32_e32 vcc_lo, s28, v7
	s_wait_alu 0xfffd
	s_delay_alu instid0(VALU_DEP_2) | instskip(NEXT) | instid1(VALU_DEP_1)
	v_dual_cndmask_b32 v7, v7, v9 :: v_dual_cndmask_b32 v4, v4, v8
	v_cmp_le_u32_e32 vcc_lo, s28, v7
	s_delay_alu instid0(VALU_DEP_2) | instskip(SKIP_1) | instid1(VALU_DEP_1)
	v_add_nc_u32_e32 v8, 1, v4
	s_wait_alu 0xfffd
	v_cndmask_b32_e32 v78, v4, v8, vcc_lo
.LBB0_6:                                ;   in Loop: Header=BB0_2 Depth=1
	s_wait_alu 0xfffe
	s_or_b32 exec_lo, exec_lo, s2
	v_mul_lo_u32 v4, v79, s28
	s_delay_alu instid0(VALU_DEP_2)
	v_mul_lo_u32 v9, v78, s29
	s_load_b64 s[30:31], s[22:23], 0x0
	v_mad_co_u64_u32 v[7:8], null, v78, s28, 0
	s_load_b64 s[28:29], s[20:21], 0x0
	s_add_nc_u64 s[24:25], s[24:25], 1
	s_add_nc_u64 s[20:21], s[20:21], 8
	s_wait_alu 0xfffe
	v_cmp_ge_u64_e64 s2, s[24:25], s[6:7]
	s_add_nc_u64 s[22:23], s[22:23], 8
	s_add_nc_u64 s[26:27], s[26:27], 8
	v_add3_u32 v4, v8, v9, v4
	v_sub_co_u32 v5, vcc_lo, v5, v7
	s_wait_alu 0xfffd
	s_delay_alu instid0(VALU_DEP_2) | instskip(SKIP_2) | instid1(VALU_DEP_1)
	v_sub_co_ci_u32_e32 v4, vcc_lo, v6, v4, vcc_lo
	s_and_b32 vcc_lo, exec_lo, s2
	s_wait_kmcnt 0x0
	v_mul_lo_u32 v6, s30, v4
	v_mul_lo_u32 v7, s31, v5
	v_mad_co_u64_u32 v[1:2], null, s30, v5, v[1:2]
	v_mul_lo_u32 v4, s28, v4
	v_mul_lo_u32 v8, s29, v5
	v_mad_co_u64_u32 v[76:77], null, s28, v5, v[76:77]
	s_delay_alu instid0(VALU_DEP_4) | instskip(NEXT) | instid1(VALU_DEP_2)
	v_add3_u32 v2, v7, v2, v6
	v_add3_u32 v77, v8, v77, v4
	s_wait_alu 0xfffe
	s_cbranch_vccnz .LBB0_9
; %bb.7:                                ;   in Loop: Header=BB0_2 Depth=1
	v_dual_mov_b32 v5, v78 :: v_dual_mov_b32 v6, v79
	s_branch .LBB0_2
.LBB0_8:
	s_delay_alu instid0(VALU_DEP_2) | instskip(NEXT) | instid1(VALU_DEP_2)
	v_dual_mov_b32 v77, v2 :: v_dual_mov_b32 v76, v1
	v_dual_mov_b32 v79, v6 :: v_dual_mov_b32 v78, v5
.LBB0_9:
	s_load_b64 s[0:1], s[0:1], 0x28
	v_mul_hi_u32 v3, 0x5050506, v0
	s_lshl_b64 s[6:7], s[6:7], 3
                                        ; implicit-def: $vgpr14_vgpr15
                                        ; implicit-def: $vgpr18_vgpr19
                                        ; implicit-def: $vgpr22_vgpr23
                                        ; implicit-def: $vgpr26_vgpr27
                                        ; implicit-def: $vgpr66_vgpr67
                                        ; implicit-def: $vgpr70_vgpr71
                                        ; implicit-def: $vgpr74_vgpr75
                                        ; implicit-def: $vgpr58_vgpr59
                                        ; implicit-def: $vgpr62_vgpr63
                                        ; implicit-def: $vgpr50_vgpr51
                                        ; implicit-def: $vgpr54_vgpr55
                                        ; implicit-def: $vgpr34_vgpr35
                                        ; implicit-def: $vgpr38_vgpr39
                                        ; implicit-def: $vgpr42_vgpr43
                                        ; implicit-def: $vgpr46_vgpr47
                                        ; implicit-def: $vgpr30_vgpr31
                                        ; implicit-def: $vgpr10_vgpr11
	s_delay_alu instid0(VALU_DEP_1) | instskip(NEXT) | instid1(VALU_DEP_1)
	v_mul_u32_u24_e32 v3, 51, v3
	v_sub_nc_u32_e32 v208, v0, v3
	s_wait_kmcnt 0x0
	v_cmp_gt_u64_e32 vcc_lo, s[0:1], v[78:79]
	s_delay_alu instid0(VALU_DEP_2) | instskip(NEXT) | instid1(VALU_DEP_1)
	v_cmp_gt_u32_e64 s0, 39, v208
	s_and_b32 s1, vcc_lo, s0
	s_wait_alu 0xfffe
	s_and_saveexec_b32 s2, s1
	s_cbranch_execz .LBB0_11
; %bb.10:
	s_add_nc_u64 s[12:13], s[12:13], s[6:7]
	v_mad_co_u64_u32 v[3:4], null, s18, v208, 0
	s_load_b64 s[12:13], s[12:13], 0x0
	v_add_nc_u32_e32 v11, 39, v208
	v_add_nc_u32_e32 v18, 0x75, v208
	;; [unrolled: 1-line block ×3, first 2 shown]
	s_delay_alu instid0(VALU_DEP_4) | instskip(NEXT) | instid1(VALU_DEP_4)
	v_dual_mov_b32 v0, v4 :: v_dual_add_nc_u32 v23, 0x249, v208
	v_mad_co_u64_u32 v[5:6], null, s18, v11, 0
	v_add_nc_u32_e32 v17, 0x4e, v208
	v_mad_co_u64_u32 v[14:15], null, s18, v18, 0
	s_delay_alu instid0(VALU_DEP_4)
	v_mad_co_u64_u32 v[9:10], null, s19, v208, v[0:1]
	v_lshlrev_b64_e32 v[0:1], 4, v[1:2]
	v_mov_b32_e32 v2, v6
	v_mad_co_u64_u32 v[12:13], null, s18, v17, 0
	v_dual_mov_b32 v10, v15 :: v_dual_add_nc_u32 v19, 0x9c, v208
	s_wait_kmcnt 0x0
	v_mul_lo_u32 v4, s13, v78
	v_mul_lo_u32 v16, s12, v79
	v_mad_co_u64_u32 v[7:8], null, s12, v78, 0
	v_mov_b32_e32 v6, v13
	s_delay_alu instid0(VALU_DEP_2) | instskip(SKIP_2) | instid1(VALU_DEP_3)
	v_add3_u32 v8, v8, v16, v4
	v_mad_co_u64_u32 v[15:16], null, s19, v11, v[2:3]
	v_mov_b32_e32 v4, v9
	v_lshlrev_b64_e32 v[7:8], 4, v[7:8]
	s_delay_alu instid0(VALU_DEP_2) | instskip(NEXT) | instid1(VALU_DEP_2)
	v_lshlrev_b64_e32 v[2:3], 4, v[3:4]
	v_add_co_u32 v4, s1, s8, v7
	v_mad_co_u64_u32 v[16:17], null, s19, v17, v[6:7]
	s_wait_alu 0xf1ff
	s_delay_alu instid0(VALU_DEP_4) | instskip(SKIP_3) | instid1(VALU_DEP_3)
	v_add_co_ci_u32_e64 v7, s1, s9, v8, s1
	v_mov_b32_e32 v6, v15
	v_add_co_u32 v21, s1, v4, v0
	s_wait_alu 0xf1ff
	v_add_co_ci_u32_e64 v22, s1, v7, v1, s1
	s_delay_alu instid0(VALU_DEP_3) | instskip(NEXT) | instid1(VALU_DEP_3)
	v_lshlrev_b64_e32 v[0:1], 4, v[5:6]
	v_add_co_u32 v2, s1, v21, v2
	v_mad_co_u64_u32 v[4:5], null, s18, v19, 0
	s_wait_alu 0xf1ff
	v_add_co_ci_u32_e64 v3, s1, v22, v3, s1
	s_delay_alu instid0(VALU_DEP_4)
	v_add_co_u32 v0, s1, v21, v0
	v_dual_mov_b32 v13, v16 :: v_dual_add_nc_u32 v16, 0xc3, v208
	s_wait_alu 0xf1ff
	v_add_co_ci_u32_e64 v1, s1, v22, v1, s1
	v_mad_co_u64_u32 v[6:7], null, s19, v18, v[10:11]
	s_clause 0x1
	global_load_b128 v[8:11], v[2:3], off
	global_load_b128 v[28:31], v[0:1], off
	v_lshlrev_b64_e32 v[0:1], 4, v[12:13]
	v_mov_b32_e32 v2, v5
	v_mad_co_u64_u32 v[12:13], null, s18, v16, 0
	v_mov_b32_e32 v15, v6
	s_delay_alu instid0(VALU_DEP_3)
	v_mad_co_u64_u32 v[2:3], null, s19, v19, v[2:3]
	v_add_nc_u32_e32 v19, 0x111, v208
	v_add_co_u32 v0, s1, v21, v0
	v_mov_b32_e32 v3, v13
	v_lshlrev_b64_e32 v[6:7], 4, v[14:15]
	s_wait_alu 0xf1ff
	v_add_co_ci_u32_e64 v1, s1, v22, v1, s1
	v_mov_b32_e32 v5, v2
	v_mad_co_u64_u32 v[2:3], null, s19, v16, v[3:4]
	v_mad_co_u64_u32 v[16:17], null, s18, v19, 0
	v_add_nc_u32_e32 v18, 0xea, v208
	v_add_co_u32 v6, s1, v21, v6
	s_wait_alu 0xf1ff
	v_add_co_ci_u32_e64 v7, s1, v22, v7, s1
	v_mov_b32_e32 v13, v2
	v_mad_co_u64_u32 v[14:15], null, s18, v18, 0
	v_lshlrev_b64_e32 v[2:3], 4, v[4:5]
	s_delay_alu instid0(VALU_DEP_3) | instskip(NEXT) | instid1(VALU_DEP_2)
	v_lshlrev_b64_e32 v[12:13], 4, v[12:13]
	v_add_co_u32 v2, s1, v21, v2
	s_delay_alu instid0(VALU_DEP_4) | instskip(SKIP_1) | instid1(VALU_DEP_4)
	v_mov_b32_e32 v4, v15
	s_wait_alu 0xf1ff
	v_add_co_ci_u32_e64 v3, s1, v22, v3, s1
	s_delay_alu instid0(VALU_DEP_4)
	v_add_co_u32 v12, s1, v21, v12
	s_wait_alu 0xf1ff
	v_add_co_ci_u32_e64 v13, s1, v22, v13, s1
	s_clause 0x3
	global_load_b128 v[44:47], v[0:1], off
	global_load_b128 v[40:43], v[6:7], off
	;; [unrolled: 1-line block ×4, first 2 shown]
	v_add_nc_u32_e32 v7, 0x15f, v208
	v_mad_co_u64_u32 v[4:5], null, s19, v18, v[4:5]
	v_dual_mov_b32 v5, v17 :: v_dual_add_nc_u32 v20, 0x138, v208
	s_delay_alu instid0(VALU_DEP_2) | instskip(NEXT) | instid1(VALU_DEP_2)
	v_mov_b32_e32 v15, v4
	v_mad_co_u64_u32 v[4:5], null, s19, v19, v[5:6]
	s_delay_alu instid0(VALU_DEP_3) | instskip(NEXT) | instid1(VALU_DEP_3)
	v_mad_co_u64_u32 v[18:19], null, s18, v20, 0
	v_lshlrev_b64_e32 v[0:1], 4, v[14:15]
	s_delay_alu instid0(VALU_DEP_3) | instskip(SKIP_1) | instid1(VALU_DEP_4)
	v_mov_b32_e32 v17, v4
	v_mad_co_u64_u32 v[3:4], null, s18, v7, 0
	v_mov_b32_e32 v2, v19
	s_delay_alu instid0(VALU_DEP_4) | instskip(NEXT) | instid1(VALU_DEP_4)
	v_add_co_u32 v0, s1, v21, v0
	v_lshlrev_b64_e32 v[5:6], 4, v[16:17]
	v_add_nc_u32_e32 v17, 0x186, v208
	s_wait_alu 0xf1ff
	v_add_co_ci_u32_e64 v1, s1, v22, v1, s1
	v_mad_co_u64_u32 v[12:13], null, s19, v20, v[2:3]
	v_mov_b32_e32 v2, v4
	v_add_co_u32 v4, s1, v21, v5
	v_mad_co_u64_u32 v[13:14], null, s18, v17, 0
	s_wait_alu 0xf1ff
	v_add_co_ci_u32_e64 v5, s1, v22, v6, s1
	v_mad_co_u64_u32 v[6:7], null, s19, v7, v[2:3]
	v_dual_mov_b32 v19, v12 :: v_dual_add_nc_u32 v20, 0x1ad, v208
	s_delay_alu instid0(VALU_DEP_4)
	v_mov_b32_e32 v2, v14
	s_clause 0x1
	global_load_b128 v[52:55], v[0:1], off
	global_load_b128 v[48:51], v[4:5], off
	v_mad_co_u64_u32 v[15:16], null, s18, v20, 0
	v_mov_b32_e32 v4, v6
	v_lshlrev_b64_e32 v[0:1], 4, v[18:19]
	v_mad_co_u64_u32 v[17:18], null, s19, v17, v[2:3]
	v_add_nc_u32_e32 v18, 0x1fb, v208
	s_delay_alu instid0(VALU_DEP_4) | instskip(SKIP_4) | instid1(VALU_DEP_3)
	v_lshlrev_b64_e32 v[3:4], 4, v[3:4]
	v_mov_b32_e32 v2, v16
	v_add_co_u32 v0, s1, v21, v0
	s_wait_alu 0xf1ff
	v_add_co_ci_u32_e64 v1, s1, v22, v1, s1
	v_mad_co_u64_u32 v[5:6], null, s19, v20, v[2:3]
	v_dual_mov_b32 v14, v17 :: v_dual_add_nc_u32 v17, 0x1d4, v208
	v_add_co_u32 v2, s1, v21, v3
	s_wait_alu 0xf1ff
	v_add_co_ci_u32_e64 v3, s1, v22, v4, s1
	s_delay_alu instid0(VALU_DEP_3)
	v_lshlrev_b64_e32 v[6:7], 4, v[13:14]
	v_mad_co_u64_u32 v[12:13], null, s18, v17, 0
	v_mov_b32_e32 v16, v5
	s_clause 0x1
	global_load_b128 v[60:63], v[0:1], off
	global_load_b128 v[56:59], v[2:3], off
	v_add_nc_u32_e32 v20, 0x222, v208
	v_add_co_u32 v0, s1, v21, v6
	v_lshlrev_b64_e32 v[3:4], 4, v[15:16]
	v_mov_b32_e32 v2, v13
	s_wait_alu 0xf1ff
	v_add_co_ci_u32_e64 v1, s1, v22, v7, s1
	v_mad_co_u64_u32 v[14:15], null, s18, v20, 0
	s_delay_alu instid0(VALU_DEP_3) | instskip(SKIP_4) | instid1(VALU_DEP_4)
	v_mad_co_u64_u32 v[5:6], null, s19, v17, v[2:3]
	v_mad_co_u64_u32 v[6:7], null, s18, v18, 0
	v_add_co_u32 v2, s1, v21, v3
	s_wait_alu 0xf1ff
	v_add_co_ci_u32_e64 v3, s1, v22, v4, s1
	v_mov_b32_e32 v13, v5
	s_delay_alu instid0(VALU_DEP_4)
	v_dual_mov_b32 v5, v15 :: v_dual_mov_b32 v4, v7
	v_mad_co_u64_u32 v[16:17], null, s18, v23, 0
	s_clause 0x1
	global_load_b128 v[72:75], v[0:1], off
	global_load_b128 v[68:71], v[2:3], off
	v_lshlrev_b64_e32 v[1:2], 4, v[12:13]
	v_mad_co_u64_u32 v[18:19], null, s19, v18, v[4:5]
	v_mad_co_u64_u32 v[4:5], null, s19, v20, v[5:6]
	;; [unrolled: 1-line block ×3, first 2 shown]
	s_delay_alu instid0(VALU_DEP_3) | instskip(NEXT) | instid1(VALU_DEP_3)
	v_dual_mov_b32 v0, v17 :: v_dual_mov_b32 v7, v18
	v_mov_b32_e32 v15, v4
	s_delay_alu instid0(VALU_DEP_2) | instskip(NEXT) | instid1(VALU_DEP_4)
	v_mad_co_u64_u32 v[3:4], null, s19, v23, v[0:1]
	v_mov_b32_e32 v0, v20
	v_add_co_u32 v1, s1, v21, v1
	v_lshlrev_b64_e32 v[4:5], 4, v[6:7]
	v_lshlrev_b64_e32 v[12:13], 4, v[14:15]
	s_wait_alu 0xf1ff
	v_add_co_ci_u32_e64 v2, s1, v22, v2, s1
	v_mad_co_u64_u32 v[6:7], null, s19, v24, v[0:1]
	v_mov_b32_e32 v17, v3
	v_add_co_u32 v3, s1, v21, v4
	s_wait_alu 0xf1ff
	v_add_co_ci_u32_e64 v4, s1, v22, v5, s1
	s_delay_alu instid0(VALU_DEP_3) | instskip(SKIP_4) | instid1(VALU_DEP_3)
	v_lshlrev_b64_e32 v[14:15], 4, v[16:17]
	v_mov_b32_e32 v20, v6
	v_add_co_u32 v5, s1, v21, v12
	s_wait_alu 0xf1ff
	v_add_co_ci_u32_e64 v6, s1, v22, v13, s1
	v_lshlrev_b64_e32 v[12:13], 4, v[19:20]
	v_add_co_u32 v14, s1, v21, v14
	s_wait_alu 0xf1ff
	v_add_co_ci_u32_e64 v15, s1, v22, v15, s1
	s_delay_alu instid0(VALU_DEP_3)
	v_add_co_u32 v12, s1, v21, v12
	s_wait_alu 0xf1ff
	v_add_co_ci_u32_e64 v13, s1, v22, v13, s1
	s_clause 0x4
	global_load_b128 v[64:67], v[1:2], off
	global_load_b128 v[24:27], v[3:4], off
	;; [unrolled: 1-line block ×5, first 2 shown]
.LBB0_11:
	s_wait_alu 0xfffe
	s_or_b32 exec_lo, exec_lo, s2
	s_wait_loadcnt 0x0
	v_add_f64_e64 v[136:137], v[30:31], -v[14:15]
	v_add_f64_e64 v[138:139], v[28:29], -v[12:13]
	s_mov_b32 s2, 0x7c9e640b
	s_mov_b32 s24, 0xeb564b22
	;; [unrolled: 1-line block ×4, first 2 shown]
	v_add_f64_e32 v[142:143], v[12:13], v[28:29]
	v_add_f64_e64 v[80:81], v[46:47], -v[18:19]
	v_add_f64_e32 v[140:141], v[14:15], v[30:31]
	v_add_f64_e64 v[82:83], v[44:45], -v[16:17]
	s_mov_b32 s8, 0x2b2883cd
	s_mov_b32 s50, 0x6c9a05f6
	;; [unrolled: 1-line block ×8, first 2 shown]
	v_add_f64_e32 v[112:113], v[16:17], v[44:45]
	v_add_f64_e32 v[86:87], v[18:19], v[46:47]
	v_add_f64_e64 v[84:85], v[42:43], -v[22:23]
	v_add_f64_e64 v[110:111], v[40:41], -v[20:21]
	s_mov_b32 s22, 0x6ed5f1bb
	s_mov_b32 s18, 0x7faef3
	s_mov_b32 s28, 0x923c349f
	s_mov_b32 s23, 0xbfe348c8
	s_mov_b32 s19, 0xbfef7484
	s_mov_b32 s21, 0x3fc7851a
	s_mov_b32 s29, 0x3feec746
	s_mov_b32 s20, s48
	v_add_f64_e32 v[116:117], v[20:21], v[40:41]
	v_add_f64_e32 v[90:91], v[22:23], v[42:43]
	v_add_f64_e64 v[88:89], v[38:39], -v[26:27]
	v_add_f64_e64 v[114:115], v[36:37], -v[24:25]
	s_mov_b32 s26, 0xc61f0d01
	s_mov_b32 s44, 0x5d8e7cdc
	s_mov_b32 s27, 0xbfd183b1
	s_mov_b32 s45, 0x3fd71e95
	s_wait_alu 0xfffe
	v_mul_f64_e32 v[200:201], s[2:3], v[136:137]
	v_mul_f64_e32 v[202:203], s[2:3], v[138:139]
	;; [unrolled: 1-line block ×4, first 2 shown]
	v_add_f64_e32 v[120:121], v[24:25], v[36:37]
	v_add_f64_e32 v[94:95], v[26:27], v[38:39]
	v_add_f64_e64 v[92:93], v[34:35], -v[66:67]
	v_mul_f64_e32 v[152:153], s[50:51], v[80:81]
	v_mul_f64_e32 v[144:145], s[48:49], v[80:81]
	;; [unrolled: 1-line block ×4, first 2 shown]
	v_add_f64_e64 v[118:119], v[32:33], -v[64:65]
	s_mov_b32 s40, 0x2a9d6da3
	s_mov_b32 s30, 0x370991
	s_mov_b32 s41, 0x3fe58eea
	s_mov_b32 s31, 0x3fedd6d0
	v_add_f64_e32 v[124:125], v[64:65], v[32:33]
	v_add_f64_e64 v[122:123], v[52:53], -v[68:69]
	s_mov_b32 s46, 0x75d4884
	s_mov_b32 s36, 0x4363dd80
	v_mul_f64_e32 v[162:163], s[20:21], v[84:85]
	v_mul_f64_e32 v[164:165], s[20:21], v[110:111]
	;; [unrolled: 1-line block ×4, first 2 shown]
	s_mov_b32 s47, 0x3fe7a5f6
	s_mov_b32 s35, 0xbfd71e95
	;; [unrolled: 1-line block ×4, first 2 shown]
	v_add_f64_e32 v[128:129], v[68:69], v[52:53]
	s_mov_b32 s38, 0x910ea3b9
	s_mov_b32 s39, 0xbfeb34fa
	;; [unrolled: 1-line block ×3, first 2 shown]
	v_mul_f64_e32 v[170:171], s[28:29], v[88:89]
	v_mul_f64_e32 v[174:175], s[28:29], v[114:115]
	;; [unrolled: 1-line block ×4, first 2 shown]
	s_mov_b32 s42, s50
	s_add_nc_u64 s[6:7], s[14:15], s[6:7]
	v_fma_f64 v[0:1], v[142:143], s[8:9], -v[200:201]
	v_fma_f64 v[2:3], v[140:141], s[8:9], v[202:203]
	v_fma_f64 v[4:5], v[142:143], s[12:13], -v[204:205]
	v_fma_f64 v[6:7], v[140:141], s[12:13], v[206:207]
	v_mul_f64_e32 v[178:179], s[40:41], v[92:93]
	v_fma_f64 v[96:97], v[112:113], s[22:23], -v[152:153]
	v_fma_f64 v[100:101], v[112:113], s[18:19], -v[144:145]
	v_fma_f64 v[98:99], v[86:87], s[22:23], v[156:157]
	v_fma_f64 v[102:103], v[86:87], s[18:19], v[146:147]
	v_mul_f64_e32 v[182:183], s[40:41], v[118:119]
	v_mul_f64_e32 v[160:161], s[2:3], v[92:93]
	v_mul_f64_e32 v[166:167], s[2:3], v[118:119]
	s_wait_alu 0xfffe
	v_mul_f64_e32 v[190:191], s[34:35], v[122:123]
	v_mul_f64_e32 v[172:173], s[36:37], v[122:123]
	v_fma_f64 v[104:105], v[116:117], s[18:19], -v[162:163]
	v_fma_f64 v[106:107], v[90:91], s[18:19], v[164:165]
	v_fma_f64 v[108:109], v[116:117], s[26:27], -v[148:149]
	v_fma_f64 v[126:127], v[90:91], s[26:27], v[150:151]
	;; [unrolled: 2-line block ×4, first 2 shown]
	v_add_f64_e32 v[0:1], v[8:9], v[0:1]
	v_add_f64_e32 v[2:3], v[10:11], v[2:3]
	v_add_f64_e32 v[4:5], v[8:9], v[4:5]
	v_add_f64_e32 v[6:7], v[10:11], v[6:7]
	v_fma_f64 v[186:187], v[124:125], s[8:9], -v[160:161]
	v_add_f64_e32 v[0:1], v[96:97], v[0:1]
	v_add_f64_e32 v[2:3], v[98:99], v[2:3]
	;; [unrolled: 1-line block ×5, first 2 shown]
	v_add_f64_e64 v[96:97], v[54:55], -v[70:71]
	v_add_f64_e32 v[102:103], v[70:71], v[54:55]
	v_add_f64_e64 v[100:101], v[50:51], -v[74:75]
	v_add_f64_e32 v[0:1], v[104:105], v[0:1]
	v_add_f64_e32 v[2:3], v[106:107], v[2:3]
	;; [unrolled: 1-line block ×4, first 2 shown]
	v_add_f64_e64 v[126:127], v[48:49], -v[72:73]
	v_mul_f64_e32 v[188:189], s[34:35], v[96:97]
	v_mul_f64_e32 v[168:169], s[36:37], v[96:97]
	v_fma_f64 v[108:109], v[124:125], s[46:47], -v[178:179]
	v_fma_f64 v[184:185], v[98:99], s[46:47], v[182:183]
	v_fma_f64 v[196:197], v[98:99], s[8:9], v[166:167]
	v_add_f64_e32 v[106:107], v[74:75], v[50:51]
	v_add_f64_e64 v[104:105], v[62:63], -v[58:59]
	v_mul_f64_e32 v[192:193], s[24:25], v[100:101]
	v_fma_f64 v[211:212], v[102:103], s[30:31], v[190:191]
	v_fma_f64 v[215:216], v[102:103], s[38:39], v[172:173]
	v_add_f64_e32 v[0:1], v[130:131], v[0:1]
	v_add_f64_e32 v[2:3], v[132:133], v[2:3]
	;; [unrolled: 1-line block ×5, first 2 shown]
	v_add_f64_e64 v[130:131], v[60:61], -v[56:57]
	v_mul_f64_e32 v[194:195], s[24:25], v[126:127]
	v_mul_f64_e32 v[176:177], s[42:43], v[100:101]
	;; [unrolled: 1-line block ×3, first 2 shown]
	v_fma_f64 v[209:210], v[128:129], s[30:31], -v[188:189]
	v_fma_f64 v[213:214], v[128:129], s[38:39], -v[168:169]
	v_add_f64_e32 v[134:135], v[56:57], v[60:61]
	v_add_f64_e32 v[0:1], v[108:109], v[0:1]
	;; [unrolled: 1-line block ×6, first 2 shown]
	v_mul_f64_e32 v[196:197], s[36:37], v[104:105]
	v_mul_f64_e32 v[198:199], s[36:37], v[130:131]
	;; [unrolled: 1-line block ×4, first 2 shown]
	v_fma_f64 v[217:218], v[132:133], s[12:13], -v[192:193]
	v_fma_f64 v[219:220], v[106:107], s[12:13], v[194:195]
	v_fma_f64 v[221:222], v[132:133], s[22:23], -v[176:177]
	v_fma_f64 v[223:224], v[106:107], s[22:23], v[180:181]
	v_add_f64_e32 v[0:1], v[209:210], v[0:1]
	v_add_f64_e32 v[2:3], v[211:212], v[2:3]
	;; [unrolled: 1-line block ×4, first 2 shown]
	v_fma_f64 v[209:210], v[134:135], s[38:39], -v[196:197]
	v_fma_f64 v[211:212], v[108:109], s[38:39], v[198:199]
	v_fma_f64 v[213:214], v[134:135], s[46:47], -v[184:185]
	v_fma_f64 v[215:216], v[108:109], s[46:47], v[186:187]
	v_add_f64_e32 v[0:1], v[217:218], v[0:1]
	v_add_f64_e32 v[2:3], v[219:220], v[2:3]
	;; [unrolled: 1-line block ×4, first 2 shown]
	s_delay_alu instid0(VALU_DEP_4) | instskip(NEXT) | instid1(VALU_DEP_4)
	v_add_f64_e32 v[4:5], v[209:210], v[0:1]
	v_add_f64_e32 v[6:7], v[211:212], v[2:3]
	s_delay_alu instid0(VALU_DEP_4) | instskip(NEXT) | instid1(VALU_DEP_4)
	v_add_f64_e32 v[0:1], v[213:214], v[217:218]
	v_add_f64_e32 v[2:3], v[215:216], v[219:220]
	scratch_store_b128 off, v[0:3], off     ; 16-byte Folded Spill
	s_and_saveexec_b32 s33, s0
	s_cbranch_execz .LBB0_13
; %bb.12:
	v_add_f64_e32 v[30:31], v[30:31], v[10:11]
	v_add_f64_e32 v[28:29], v[28:29], v[8:9]
	s_mov_b32 s1, 0xbfeec746
	s_mov_b32 s0, s28
	;; [unrolled: 1-line block ×10, first 2 shown]
	v_mul_f64_e32 v[213:214], s[12:13], v[134:135]
	v_mul_f64_e32 v[211:212], s[54:55], v[130:131]
	;; [unrolled: 1-line block ×9, first 2 shown]
	v_mad_u32_u24 v0, 0x110, v208, 0
	v_add_f64_e32 v[30:31], v[46:47], v[30:31]
	v_add_f64_e32 v[28:29], v[44:45], v[28:29]
	s_delay_alu instid0(VALU_DEP_2) | instskip(NEXT) | instid1(VALU_DEP_2)
	v_add_f64_e32 v[30:31], v[42:43], v[30:31]
	v_add_f64_e32 v[28:29], v[40:41], v[28:29]
	s_delay_alu instid0(VALU_DEP_2) | instskip(NEXT) | instid1(VALU_DEP_2)
	;; [unrolled: 3-line block ×3, first 2 shown]
	v_add_f64_e32 v[30:31], v[34:35], v[30:31]
	v_add_f64_e32 v[28:29], v[32:33], v[28:29]
	v_mul_f64_e32 v[32:33], s[46:47], v[142:143]
	v_mul_f64_e32 v[34:35], s[30:31], v[142:143]
	s_delay_alu instid0(VALU_DEP_4) | instskip(NEXT) | instid1(VALU_DEP_4)
	v_add_f64_e32 v[30:31], v[54:55], v[30:31]
	v_add_f64_e32 v[28:29], v[52:53], v[28:29]
	v_mul_f64_e32 v[52:53], s[50:51], v[138:139]
	v_mul_f64_e32 v[54:55], s[34:35], v[138:139]
	v_fma_f64 v[44:45], v[136:137], s[40:41], v[32:33]
	v_fma_f64 v[32:33], v[136:137], s[52:53], v[32:33]
	;; [unrolled: 1-line block ×4, first 2 shown]
	v_add_f64_e32 v[30:31], v[50:51], v[30:31]
	v_add_f64_e32 v[28:29], v[48:49], v[28:29]
	v_mul_f64_e32 v[48:49], s[48:49], v[138:139]
	v_mul_f64_e32 v[50:51], s[36:37], v[138:139]
	s_delay_alu instid0(VALU_DEP_4) | instskip(NEXT) | instid1(VALU_DEP_4)
	v_add_f64_e32 v[30:31], v[62:63], v[30:31]
	v_add_f64_e32 v[28:29], v[60:61], v[28:29]
	s_delay_alu instid0(VALU_DEP_4)
	v_fma_f64 v[60:61], v[140:141], s[18:19], v[48:49]
	v_fma_f64 v[48:49], v[140:141], s[18:19], -v[48:49]
	v_fma_f64 v[62:63], v[140:141], s[38:39], v[50:51]
	v_fma_f64 v[50:51], v[140:141], s[38:39], -v[50:51]
	v_add_f64_e32 v[30:31], v[58:59], v[30:31]
	v_add_f64_e32 v[28:29], v[56:57], v[28:29]
	s_wait_alu 0xfffe
	v_mul_f64_e32 v[56:57], s[0:1], v[138:139]
	v_mul_f64_e32 v[58:59], s[52:53], v[138:139]
	v_add_f64_e32 v[60:61], v[10:11], v[60:61]
	v_add_f64_e32 v[48:49], v[10:11], v[48:49]
	;; [unrolled: 1-line block ×6, first 2 shown]
	s_delay_alu instid0(VALU_DEP_2) | instskip(NEXT) | instid1(VALU_DEP_2)
	v_add_f64_e32 v[30:31], v[70:71], v[30:31]
	v_add_f64_e32 v[28:29], v[68:69], v[28:29]
	v_fma_f64 v[68:69], v[140:141], s[26:27], v[56:57]
	v_fma_f64 v[56:57], v[140:141], s[26:27], -v[56:57]
	v_fma_f64 v[70:71], v[140:141], s[46:47], v[58:59]
	v_fma_f64 v[58:59], v[140:141], s[46:47], -v[58:59]
	v_add_f64_e32 v[30:31], v[66:67], v[30:31]
	v_add_f64_e32 v[28:29], v[64:65], v[28:29]
	v_fma_f64 v[64:65], v[140:141], s[22:23], v[52:53]
	v_fma_f64 v[52:53], v[140:141], s[22:23], -v[52:53]
	v_fma_f64 v[66:67], v[140:141], s[30:31], v[54:55]
	v_fma_f64 v[54:55], v[140:141], s[30:31], -v[54:55]
	v_add_f64_e32 v[68:69], v[10:11], v[68:69]
	v_add_f64_e32 v[26:27], v[26:27], v[30:31]
	;; [unrolled: 1-line block ×3, first 2 shown]
	v_mul_f64_e32 v[30:31], s[26:27], v[142:143]
	v_mul_f64_e32 v[28:29], s[22:23], v[142:143]
	v_add_f64_e32 v[64:65], v[10:11], v[64:65]
	v_add_f64_e32 v[66:67], v[10:11], v[66:67]
	;; [unrolled: 1-line block ×4, first 2 shown]
	v_mul_f64_e32 v[24:25], s[18:19], v[142:143]
	v_mul_f64_e32 v[26:27], s[38:39], v[142:143]
	v_fma_f64 v[42:43], v[136:137], s[28:29], v[30:31]
	v_fma_f64 v[40:41], v[136:137], s[42:43], v[28:29]
	;; [unrolled: 1-line block ×4, first 2 shown]
	v_add_f64_e32 v[18:19], v[18:19], v[22:23]
	v_add_f64_e32 v[16:17], v[16:17], v[20:21]
	v_mul_f64_e32 v[20:21], s[8:9], v[140:141]
	v_mul_f64_e32 v[22:23], s[8:9], v[142:143]
	v_fma_f64 v[36:37], v[136:137], s[20:21], v[24:25]
	v_fma_f64 v[24:25], v[136:137], s[48:49], v[24:25]
	;; [unrolled: 1-line block ×4, first 2 shown]
	v_add_f64_e32 v[138:139], v[8:9], v[42:43]
	v_add_f64_e32 v[136:137], v[8:9], v[40:41]
	v_add_f64_e32 v[40:41], v[8:9], v[28:29]
	v_add_f64_e32 v[14:15], v[14:15], v[18:19]
	v_add_f64_e32 v[12:13], v[12:13], v[16:17]
	v_mul_f64_e32 v[16:17], s[12:13], v[140:141]
	v_mul_f64_e32 v[18:19], s[12:13], v[142:143]
	v_add_f64_e64 v[20:21], v[20:21], -v[202:203]
	v_add_f64_e32 v[22:23], v[200:201], v[22:23]
	v_add_f64_e32 v[36:37], v[8:9], v[36:37]
	;; [unrolled: 1-line block ×13, first 2 shown]
	v_mul_f64_e32 v[34:35], s[36:37], v[110:111]
	v_add_f64_e64 v[16:17], v[16:17], -v[206:207]
	v_add_f64_e32 v[18:19], v[204:205], v[18:19]
	v_add_f64_e32 v[28:29], v[10:11], v[20:21]
	;; [unrolled: 1-line block ×7, first 2 shown]
	v_mul_f64_e32 v[16:17], s[44:45], v[82:83]
	v_mul_f64_e32 v[18:19], s[30:31], v[112:113]
	s_delay_alu instid0(VALU_DEP_2) | instskip(NEXT) | instid1(VALU_DEP_2)
	v_fma_f64 v[8:9], v[86:87], s[30:31], v[16:17]
	v_fma_f64 v[10:11], v[80:81], s[34:35], v[18:19]
	v_fma_f64 v[16:17], v[86:87], s[30:31], -v[16:17]
	v_fma_f64 v[18:19], v[80:81], s[44:45], v[18:19]
	s_delay_alu instid0(VALU_DEP_4) | instskip(NEXT) | instid1(VALU_DEP_4)
	v_add_f64_e32 v[8:9], v[8:9], v[60:61]
	v_add_f64_e32 v[10:11], v[10:11], v[36:37]
	v_fma_f64 v[36:37], v[90:91], s[38:39], v[34:35]
	v_add_f64_e32 v[16:17], v[16:17], v[48:49]
	v_add_f64_e32 v[18:19], v[18:19], v[24:25]
	v_fma_f64 v[24:25], v[90:91], s[38:39], -v[34:35]
	v_fma_f64 v[34:35], v[104:105], s[54:55], v[213:214]
	v_mul_f64_e32 v[48:49], s[22:23], v[112:113]
	v_add_f64_e32 v[8:9], v[36:37], v[8:9]
	v_mul_f64_e32 v[36:37], s[38:39], v[116:117]
	v_add_f64_e32 v[16:17], v[24:25], v[16:17]
	s_delay_alu instid0(VALU_DEP_4) | instskip(SKIP_1) | instid1(VALU_DEP_4)
	v_add_f64_e32 v[48:49], v[152:153], v[48:49]
	v_mul_f64_e32 v[152:153], s[30:31], v[102:103]
	v_fma_f64 v[44:45], v[84:85], s[14:15], v[36:37]
	v_fma_f64 v[24:25], v[84:85], s[36:37], v[36:37]
	v_mul_f64_e32 v[36:37], s[22:23], v[86:87]
	v_add_f64_e32 v[30:31], v[48:49], v[30:31]
	v_add_f64_e64 v[152:153], v[152:153], -v[190:191]
	v_mul_f64_e32 v[48:49], s[26:27], v[116:117]
	v_add_f64_e32 v[10:11], v[44:45], v[10:11]
	v_mul_f64_e32 v[44:45], s[40:41], v[114:115]
	v_add_f64_e32 v[18:19], v[24:25], v[18:19]
	v_add_f64_e64 v[36:37], v[36:37], -v[156:157]
	v_mul_f64_e32 v[156:157], s[48:49], v[126:127]
	v_add_f64_e32 v[48:49], v[148:149], v[48:49]
	v_mul_f64_e32 v[148:149], s[54:55], v[118:119]
	v_fma_f64 v[46:47], v[94:95], s[46:47], v[44:45]
	v_fma_f64 v[24:25], v[94:95], s[46:47], -v[44:45]
	v_add_f64_e32 v[28:29], v[36:37], v[28:29]
	v_mul_f64_e32 v[44:45], s[26:27], v[120:121]
	v_mul_f64_e32 v[36:37], s[30:31], v[128:129]
	v_add_f64_e32 v[8:9], v[46:47], v[8:9]
	v_mul_f64_e32 v[46:47], s[46:47], v[120:121]
	v_add_f64_e32 v[16:17], v[24:25], v[16:17]
	v_add_f64_e32 v[44:45], v[170:171], v[44:45]
	;; [unrolled: 1-line block ×3, first 2 shown]
	s_delay_alu instid0(VALU_DEP_4) | instskip(SKIP_2) | instid1(VALU_DEP_3)
	v_fma_f64 v[58:59], v[88:89], s[52:53], v[46:47]
	v_fma_f64 v[24:25], v[88:89], s[40:41], v[46:47]
	v_mul_f64_e32 v[46:47], s[18:19], v[116:117]
	v_add_f64_e32 v[10:11], v[58:59], v[10:11]
	v_mul_f64_e32 v[58:59], s[50:51], v[118:119]
	s_delay_alu instid0(VALU_DEP_4) | instskip(NEXT) | instid1(VALU_DEP_4)
	v_add_f64_e32 v[18:19], v[24:25], v[18:19]
	v_add_f64_e32 v[46:47], v[162:163], v[46:47]
	v_mul_f64_e32 v[162:163], s[8:9], v[134:135]
	s_delay_alu instid0(VALU_DEP_4)
	v_fma_f64 v[60:61], v[98:99], s[22:23], v[58:59]
	v_fma_f64 v[24:25], v[98:99], s[22:23], -v[58:59]
	v_mul_f64_e32 v[58:59], s[46:47], v[98:99]
	v_add_f64_e32 v[30:31], v[46:47], v[30:31]
	v_mul_f64_e32 v[46:47], s[30:31], v[120:121]
	v_add_f64_e32 v[8:9], v[60:61], v[8:9]
	;; [unrolled: 2-line block ×3, first 2 shown]
	v_add_f64_e64 v[58:59], v[58:59], -v[182:183]
	v_add_f64_e32 v[30:31], v[44:45], v[30:31]
	v_mul_f64_e32 v[44:45], s[38:39], v[108:109]
	v_add_f64_e32 v[46:47], v[154:155], v[46:47]
	v_mul_f64_e32 v[154:155], s[46:47], v[128:129]
	v_mul_f64_e32 v[182:183], s[0:1], v[130:131]
	v_fma_f64 v[70:71], v[92:93], s[42:43], v[60:61]
	v_fma_f64 v[24:25], v[92:93], s[50:51], v[60:61]
	v_mul_f64_e32 v[60:61], s[46:47], v[124:125]
	v_add_f64_e64 v[44:45], v[44:45], -v[198:199]
	s_delay_alu instid0(VALU_DEP_4) | instskip(SKIP_3) | instid1(VALU_DEP_3)
	v_add_f64_e32 v[10:11], v[70:71], v[10:11]
	v_mul_f64_e32 v[70:71], s[56:57], v[122:123]
	v_add_f64_e32 v[18:19], v[24:25], v[18:19]
	v_add_f64_e32 v[60:61], v[178:179], v[60:61]
	v_fma_f64 v[202:203], v[102:103], s[8:9], v[70:71]
	v_fma_f64 v[24:25], v[102:103], s[8:9], -v[70:71]
	v_mul_f64_e32 v[70:71], s[52:53], v[82:83]
	s_delay_alu instid0(VALU_DEP_4)
	v_add_f64_e32 v[30:31], v[60:61], v[30:31]
	v_mul_f64_e32 v[60:61], s[38:39], v[102:103]
	v_add_f64_e32 v[8:9], v[202:203], v[8:9]
	v_mul_f64_e32 v[202:203], s[8:9], v[128:129]
	v_add_f64_e32 v[16:17], v[24:25], v[16:17]
	v_add_f64_e32 v[30:31], v[36:37], v[30:31]
	v_mul_f64_e32 v[36:37], s[38:39], v[134:135]
	v_add_f64_e64 v[60:61], v[60:61], -v[172:173]
	v_fma_f64 v[204:205], v[96:97], s[2:3], v[202:203]
	v_fma_f64 v[24:25], v[96:97], s[56:57], v[202:203]
	v_mul_f64_e32 v[202:203], s[46:47], v[112:113]
	v_add_f64_e32 v[36:37], v[196:197], v[36:37]
	s_delay_alu instid0(VALU_DEP_4) | instskip(SKIP_2) | instid1(VALU_DEP_2)
	v_add_f64_e32 v[10:11], v[204:205], v[10:11]
	v_mul_f64_e32 v[204:205], s[0:1], v[126:127]
	v_add_f64_e32 v[18:19], v[24:25], v[18:19]
	v_fma_f64 v[206:207], v[106:107], s[26:27], v[204:205]
	v_fma_f64 v[24:25], v[106:107], s[26:27], -v[204:205]
	v_mul_f64_e32 v[204:205], s[2:3], v[110:111]
	s_delay_alu instid0(VALU_DEP_3) | instskip(SKIP_1) | instid1(VALU_DEP_4)
	v_add_f64_e32 v[8:9], v[206:207], v[8:9]
	v_mul_f64_e32 v[206:207], s[26:27], v[132:133]
	v_add_f64_e32 v[16:17], v[24:25], v[16:17]
	s_delay_alu instid0(VALU_DEP_2) | instskip(SKIP_2) | instid1(VALU_DEP_3)
	v_fma_f64 v[24:25], v[100:101], s[0:1], v[206:207]
	v_fma_f64 v[209:210], v[100:101], s[28:29], v[206:207]
	v_mul_f64_e32 v[206:207], s[8:9], v[116:117]
	v_add_f64_e32 v[24:25], v[24:25], v[18:19]
	v_fma_f64 v[18:19], v[108:109], s[12:13], -v[211:212]
	s_delay_alu instid0(VALU_DEP_4) | instskip(SKIP_2) | instid1(VALU_DEP_4)
	v_add_f64_e32 v[209:210], v[209:210], v[10:11]
	v_fma_f64 v[10:11], v[108:109], s[12:13], v[211:212]
	v_mul_f64_e32 v[211:212], s[12:13], v[120:121]
	v_add_f64_e32 v[18:19], v[18:19], v[16:17]
	v_add_f64_e32 v[16:17], v[34:35], v[24:25]
	v_fma_f64 v[24:25], v[86:87], s[46:47], -v[70:71]
	v_add_f64_e32 v[10:11], v[10:11], v[8:9]
	v_fma_f64 v[8:9], v[104:105], s[24:25], v[213:214]
	v_mul_f64_e32 v[213:214], s[0:1], v[118:119]
	v_mul_f64_e32 v[34:35], s[18:19], v[90:91]
	v_add_f64_e32 v[24:25], v[24:25], v[26:27]
	v_fma_f64 v[26:27], v[80:81], s[52:53], v[202:203]
	v_add_f64_e32 v[8:9], v[8:9], v[209:210]
	v_mul_f64_e32 v[209:210], s[24:25], v[114:115]
	v_add_f64_e64 v[34:35], v[34:35], -v[164:165]
	s_delay_alu instid0(VALU_DEP_4) | instskip(SKIP_1) | instid1(VALU_DEP_3)
	v_add_f64_e32 v[26:27], v[26:27], v[32:33]
	v_fma_f64 v[32:33], v[90:91], s[8:9], -v[204:205]
	v_add_f64_e32 v[28:29], v[34:35], v[28:29]
	v_mul_f64_e32 v[34:35], s[12:13], v[106:107]
	s_delay_alu instid0(VALU_DEP_3) | instskip(SKIP_1) | instid1(VALU_DEP_3)
	v_add_f64_e32 v[24:25], v[32:33], v[24:25]
	v_fma_f64 v[32:33], v[84:85], s[2:3], v[206:207]
	v_add_f64_e64 v[34:35], v[34:35], -v[194:195]
	s_delay_alu instid0(VALU_DEP_2) | instskip(SKIP_1) | instid1(VALU_DEP_1)
	v_add_f64_e32 v[26:27], v[32:33], v[26:27]
	v_fma_f64 v[32:33], v[94:95], s[12:13], -v[209:210]
	v_add_f64_e32 v[24:25], v[32:33], v[24:25]
	v_fma_f64 v[32:33], v[88:89], s[24:25], v[211:212]
	s_delay_alu instid0(VALU_DEP_1) | instskip(SKIP_1) | instid1(VALU_DEP_1)
	v_add_f64_e32 v[26:27], v[32:33], v[26:27]
	v_fma_f64 v[32:33], v[98:99], s[26:27], -v[213:214]
	v_add_f64_e32 v[24:25], v[32:33], v[24:25]
	v_fma_f64 v[32:33], v[92:93], s[0:1], v[215:216]
	s_delay_alu instid0(VALU_DEP_1) | instskip(SKIP_1) | instid1(VALU_DEP_1)
	;; [unrolled: 5-line block ×5, first 2 shown]
	v_add_f64_e32 v[24:25], v[24:25], v[32:33]
	v_mul_f64_e32 v[32:33], s[26:27], v[94:95]
	v_add_f64_e64 v[32:33], v[32:33], -v[174:175]
	s_delay_alu instid0(VALU_DEP_1) | instskip(SKIP_1) | instid1(VALU_DEP_2)
	v_add_f64_e32 v[28:29], v[32:33], v[28:29]
	v_mul_f64_e32 v[32:33], s[12:13], v[132:133]
	v_add_f64_e32 v[28:29], v[58:59], v[28:29]
	s_delay_alu instid0(VALU_DEP_2) | instskip(SKIP_1) | instid1(VALU_DEP_3)
	v_add_f64_e32 v[32:33], v[192:193], v[32:33]
	v_mul_f64_e32 v[58:59], s[18:19], v[112:113]
	v_add_f64_e32 v[28:29], v[152:153], v[28:29]
	s_delay_alu instid0(VALU_DEP_3) | instskip(NEXT) | instid1(VALU_DEP_3)
	v_add_f64_e32 v[32:33], v[32:33], v[30:31]
	v_add_f64_e32 v[58:59], v[144:145], v[58:59]
	v_mul_f64_e32 v[144:145], s[38:39], v[128:129]
	v_mul_f64_e32 v[152:153], s[52:53], v[122:123]
	v_add_f64_e32 v[28:29], v[34:35], v[28:29]
	v_mul_f64_e32 v[34:35], s[30:31], v[94:95]
	s_delay_alu instid0(VALU_DEP_4) | instskip(NEXT) | instid1(VALU_DEP_3)
	v_add_f64_e32 v[144:145], v[168:169], v[144:145]
	v_add_f64_e32 v[30:31], v[44:45], v[28:29]
	v_mul_f64_e32 v[44:45], s[18:19], v[86:87]
	v_add_f64_e32 v[28:29], v[36:37], v[32:33]
	v_mul_f64_e32 v[36:37], s[26:27], v[90:91]
	v_mul_f64_e32 v[32:33], s[8:9], v[98:99]
	v_add_f64_e64 v[34:35], v[34:35], -v[158:159]
	v_mul_f64_e32 v[158:159], s[18:19], v[132:133]
	v_add_f64_e64 v[44:45], v[44:45], -v[146:147]
	;; [unrolled: 2-line block ×3, first 2 shown]
	v_add_f64_e64 v[32:33], v[32:33], -v[166:167]
	v_mul_f64_e32 v[150:151], s[12:13], v[124:125]
	v_add_f64_e32 v[42:43], v[44:45], v[42:43]
	v_add_f64_e32 v[44:45], v[58:59], v[140:141]
	v_mul_f64_e32 v[58:59], s[8:9], v[124:125]
	v_mul_f64_e32 v[140:141], s[30:31], v[116:117]
	s_delay_alu instid0(VALU_DEP_4) | instskip(NEXT) | instid1(VALU_DEP_4)
	v_add_f64_e32 v[36:37], v[36:37], v[42:43]
	v_add_f64_e32 v[42:43], v[48:49], v[44:45]
	s_delay_alu instid0(VALU_DEP_4)
	v_add_f64_e32 v[58:59], v[160:161], v[58:59]
	v_mul_f64_e32 v[44:45], s[22:23], v[106:107]
	v_mul_f64_e32 v[48:49], s[28:29], v[82:83]
	;; [unrolled: 1-line block ×3, first 2 shown]
	v_add_f64_e32 v[34:35], v[34:35], v[36:37]
	v_add_f64_e32 v[36:37], v[46:47], v[42:43]
	v_mul_f64_e32 v[42:43], s[22:23], v[132:133]
	v_add_f64_e64 v[44:45], v[44:45], -v[180:181]
	v_mul_f64_e32 v[46:47], s[46:47], v[134:135]
	v_add_f64_e32 v[32:33], v[32:33], v[34:35]
	v_add_f64_e32 v[34:35], v[58:59], v[36:37]
	v_mul_f64_e32 v[36:37], s[46:47], v[108:109]
	v_add_f64_e32 v[42:43], v[176:177], v[42:43]
	v_mul_f64_e32 v[58:59], s[26:27], v[112:113]
	v_add_f64_e32 v[46:47], v[184:185], v[46:47]
	v_mul_f64_e32 v[184:185], s[26:27], v[134:135]
	v_add_f64_e32 v[32:33], v[60:61], v[32:33]
	v_add_f64_e32 v[34:35], v[144:145], v[34:35]
	v_add_f64_e64 v[36:37], v[36:37], -v[186:187]
	v_mul_f64_e32 v[60:61], s[34:35], v[110:111]
	v_mul_f64_e32 v[144:145], s[36:37], v[114:115]
	v_add_f64_e32 v[32:33], v[44:45], v[32:33]
	v_add_f64_e32 v[42:43], v[42:43], v[34:35]
	v_mul_f64_e32 v[44:45], s[56:57], v[82:83]
	s_delay_alu instid0(VALU_DEP_3) | instskip(SKIP_1) | instid1(VALU_DEP_4)
	v_add_f64_e32 v[34:35], v[36:37], v[32:33]
	v_fma_f64 v[36:37], v[86:87], s[26:27], -v[48:49]
	v_add_f64_e32 v[32:33], v[46:47], v[42:43]
	v_mul_f64_e32 v[46:47], s[8:9], v[112:113]
	v_fma_f64 v[48:49], v[86:87], s[26:27], v[48:49]
	s_delay_alu instid0(VALU_DEP_4) | instskip(SKIP_1) | instid1(VALU_DEP_4)
	v_add_f64_e32 v[36:37], v[36:37], v[38:39]
	v_fma_f64 v[38:39], v[80:81], s[28:29], v[58:59]
	v_fma_f64 v[42:43], v[80:81], s[56:57], v[46:47]
	;; [unrolled: 1-line block ×3, first 2 shown]
	v_add_f64_e32 v[48:49], v[48:49], v[64:65]
	v_mul_f64_e32 v[64:65], s[46:47], v[116:117]
	v_add_f64_e32 v[38:39], v[38:39], v[40:41]
	v_fma_f64 v[40:41], v[90:91], s[30:31], -v[60:61]
	v_add_f64_e32 v[42:43], v[42:43], v[74:75]
	v_add_f64_e32 v[46:47], v[46:47], v[72:73]
	v_mul_f64_e32 v[72:73], s[40:41], v[110:111]
	s_delay_alu instid0(VALU_DEP_4) | instskip(SKIP_1) | instid1(VALU_DEP_1)
	v_add_f64_e32 v[36:37], v[40:41], v[36:37]
	v_fma_f64 v[40:41], v[84:85], s[34:35], v[140:141]
	v_add_f64_e32 v[38:39], v[40:41], v[38:39]
	v_fma_f64 v[40:41], v[94:95], s[38:39], -v[144:145]
	s_delay_alu instid0(VALU_DEP_1) | instskip(SKIP_1) | instid1(VALU_DEP_1)
	v_add_f64_e32 v[36:37], v[40:41], v[36:37]
	v_fma_f64 v[40:41], v[88:89], s[36:37], v[146:147]
	v_add_f64_e32 v[38:39], v[40:41], v[38:39]
	v_fma_f64 v[40:41], v[98:99], s[12:13], -v[148:149]
	s_delay_alu instid0(VALU_DEP_1) | instskip(SKIP_1) | instid1(VALU_DEP_1)
	v_add_f64_e32 v[36:37], v[40:41], v[36:37]
	v_fma_f64 v[40:41], v[92:93], s[54:55], v[150:151]
	v_add_f64_e32 v[38:39], v[40:41], v[38:39]
	v_fma_f64 v[40:41], v[102:103], s[46:47], -v[152:153]
	s_delay_alu instid0(VALU_DEP_1) | instskip(SKIP_1) | instid1(VALU_DEP_1)
	v_add_f64_e32 v[36:37], v[40:41], v[36:37]
	v_fma_f64 v[40:41], v[96:97], s[52:53], v[154:155]
	v_add_f64_e32 v[38:39], v[40:41], v[38:39]
	v_fma_f64 v[40:41], v[106:107], s[18:19], -v[156:157]
	s_delay_alu instid0(VALU_DEP_1) | instskip(SKIP_1) | instid1(VALU_DEP_1)
	v_add_f64_e32 v[36:37], v[40:41], v[36:37]
	v_fma_f64 v[40:41], v[100:101], s[48:49], v[158:159]
	v_add_f64_e32 v[40:41], v[40:41], v[38:39]
	v_fma_f64 v[38:39], v[108:109], s[8:9], -v[160:161]
	s_delay_alu instid0(VALU_DEP_1) | instskip(SKIP_1) | instid1(VALU_DEP_1)
	v_add_f64_e32 v[38:39], v[38:39], v[36:37]
	v_fma_f64 v[36:37], v[104:105], s[56:57], v[162:163]
	v_add_f64_e32 v[36:37], v[36:37], v[40:41]
	v_fma_f64 v[40:41], v[86:87], s[8:9], -v[44:45]
	v_fma_f64 v[44:45], v[86:87], s[8:9], v[44:45]
	s_delay_alu instid0(VALU_DEP_2) | instskip(SKIP_1) | instid1(VALU_DEP_3)
	v_add_f64_e32 v[40:41], v[40:41], v[50:51]
	v_mul_f64_e32 v[50:51], s[24:25], v[110:111]
	v_add_f64_e32 v[44:45], v[44:45], v[62:63]
	v_fma_f64 v[62:63], v[104:105], s[28:29], v[184:185]
	v_mul_f64_e32 v[110:111], s[50:51], v[110:111]
	s_delay_alu instid0(VALU_DEP_4) | instskip(SKIP_1) | instid1(VALU_DEP_2)
	v_fma_f64 v[74:75], v[90:91], s[12:13], -v[50:51]
	v_fma_f64 v[50:51], v[90:91], s[12:13], v[50:51]
	v_add_f64_e32 v[40:41], v[74:75], v[40:41]
	v_mul_f64_e32 v[74:75], s[12:13], v[116:117]
	s_delay_alu instid0(VALU_DEP_3) | instskip(SKIP_1) | instid1(VALU_DEP_3)
	v_add_f64_e32 v[44:45], v[50:51], v[44:45]
	v_mul_f64_e32 v[116:117], s[22:23], v[116:117]
	v_fma_f64 v[164:165], v[84:85], s[24:25], v[74:75]
	v_fma_f64 v[50:51], v[84:85], s[54:55], v[74:75]
	v_mul_f64_e32 v[74:75], s[8:9], v[120:121]
	s_delay_alu instid0(VALU_DEP_3) | instskip(SKIP_1) | instid1(VALU_DEP_4)
	v_add_f64_e32 v[42:43], v[164:165], v[42:43]
	v_mul_f64_e32 v[164:165], s[42:43], v[114:115]
	v_add_f64_e32 v[46:47], v[50:51], v[46:47]
	s_delay_alu instid0(VALU_DEP_2) | instskip(SKIP_1) | instid1(VALU_DEP_2)
	v_fma_f64 v[166:167], v[94:95], s[22:23], -v[164:165]
	v_fma_f64 v[50:51], v[94:95], s[22:23], v[164:165]
	v_add_f64_e32 v[40:41], v[166:167], v[40:41]
	v_mul_f64_e32 v[166:167], s[22:23], v[120:121]
	s_delay_alu instid0(VALU_DEP_3) | instskip(SKIP_1) | instid1(VALU_DEP_3)
	v_add_f64_e32 v[44:45], v[50:51], v[44:45]
	v_mul_f64_e32 v[120:121], s[18:19], v[120:121]
	v_fma_f64 v[168:169], v[88:89], s[42:43], v[166:167]
	v_fma_f64 v[50:51], v[88:89], s[50:51], v[166:167]
	s_delay_alu instid0(VALU_DEP_2) | instskip(SKIP_1) | instid1(VALU_DEP_3)
	v_add_f64_e32 v[42:43], v[168:169], v[42:43]
	v_mul_f64_e32 v[168:169], s[34:35], v[118:119]
	v_add_f64_e32 v[46:47], v[50:51], v[46:47]
	s_delay_alu instid0(VALU_DEP_2) | instskip(SKIP_1) | instid1(VALU_DEP_2)
	v_fma_f64 v[170:171], v[98:99], s[30:31], -v[168:169]
	v_fma_f64 v[50:51], v[98:99], s[30:31], v[168:169]
	v_add_f64_e32 v[40:41], v[170:171], v[40:41]
	v_mul_f64_e32 v[170:171], s[30:31], v[124:125]
	s_delay_alu instid0(VALU_DEP_3) | instskip(NEXT) | instid1(VALU_DEP_2)
	v_add_f64_e32 v[44:45], v[50:51], v[44:45]
	v_fma_f64 v[172:173], v[92:93], s[34:35], v[170:171]
	v_fma_f64 v[50:51], v[92:93], s[44:45], v[170:171]
	s_delay_alu instid0(VALU_DEP_2) | instskip(SKIP_1) | instid1(VALU_DEP_3)
	v_add_f64_e32 v[42:43], v[172:173], v[42:43]
	v_mul_f64_e32 v[172:173], s[48:49], v[122:123]
	v_add_f64_e32 v[46:47], v[50:51], v[46:47]
	s_delay_alu instid0(VALU_DEP_2) | instskip(SKIP_1) | instid1(VALU_DEP_2)
	v_fma_f64 v[174:175], v[102:103], s[18:19], -v[172:173]
	v_fma_f64 v[50:51], v[102:103], s[18:19], v[172:173]
	v_add_f64_e32 v[40:41], v[174:175], v[40:41]
	v_mul_f64_e32 v[174:175], s[18:19], v[128:129]
	s_delay_alu instid0(VALU_DEP_3) | instskip(NEXT) | instid1(VALU_DEP_2)
	v_add_f64_e32 v[44:45], v[50:51], v[44:45]
	v_fma_f64 v[176:177], v[96:97], s[48:49], v[174:175]
	v_fma_f64 v[50:51], v[96:97], s[20:21], v[174:175]
	s_delay_alu instid0(VALU_DEP_2) | instskip(SKIP_1) | instid1(VALU_DEP_3)
	v_add_f64_e32 v[42:43], v[176:177], v[42:43]
	v_mul_f64_e32 v[176:177], s[40:41], v[126:127]
	v_add_f64_e32 v[46:47], v[50:51], v[46:47]
	s_delay_alu instid0(VALU_DEP_2) | instskip(SKIP_1) | instid1(VALU_DEP_2)
	v_fma_f64 v[178:179], v[106:107], s[46:47], -v[176:177]
	v_fma_f64 v[50:51], v[106:107], s[46:47], v[176:177]
	v_add_f64_e32 v[40:41], v[178:179], v[40:41]
	v_mul_f64_e32 v[178:179], s[46:47], v[132:133]
	s_delay_alu instid0(VALU_DEP_3) | instskip(NEXT) | instid1(VALU_DEP_2)
	v_add_f64_e32 v[44:45], v[50:51], v[44:45]
	v_fma_f64 v[50:51], v[100:101], s[52:53], v[178:179]
	v_fma_f64 v[180:181], v[100:101], s[40:41], v[178:179]
	s_delay_alu instid0(VALU_DEP_2) | instskip(SKIP_1) | instid1(VALU_DEP_3)
	v_add_f64_e32 v[50:51], v[50:51], v[46:47]
	v_fma_f64 v[46:47], v[108:109], s[26:27], v[182:183]
	v_add_f64_e32 v[180:181], v[180:181], v[42:43]
	v_fma_f64 v[42:43], v[108:109], s[26:27], -v[182:183]
	s_delay_alu instid0(VALU_DEP_3)
	v_add_f64_e32 v[46:47], v[46:47], v[44:45]
	v_add_f64_e32 v[44:45], v[62:63], v[50:51]
	v_fma_f64 v[50:51], v[80:81], s[0:1], v[58:59]
	v_fma_f64 v[58:59], v[90:91], s[30:31], v[60:61]
	;; [unrolled: 1-line block ×3, first 2 shown]
	v_mul_f64_e32 v[62:63], s[14:15], v[82:83]
	v_mul_f64_e32 v[82:83], s[24:25], v[82:83]
	v_add_f64_e32 v[42:43], v[42:43], v[40:41]
	v_fma_f64 v[40:41], v[104:105], s[0:1], v[184:185]
	v_add_f64_e32 v[50:51], v[50:51], v[136:137]
	v_add_f64_e32 v[48:49], v[58:59], v[48:49]
	v_fma_f64 v[58:59], v[84:85], s[44:45], v[140:141]
	v_mul_f64_e32 v[136:137], s[2:3], v[114:115]
	v_mul_f64_e32 v[140:141], s[18:19], v[124:125]
	;; [unrolled: 1-line block ×4, first 2 shown]
	v_add_f64_e32 v[40:41], v[40:41], v[180:181]
	v_add_f64_e32 v[50:51], v[58:59], v[50:51]
	v_fma_f64 v[58:59], v[94:95], s[38:39], v[144:145]
	v_mul_f64_e32 v[144:145], s[48:49], v[118:119]
	v_mul_f64_e32 v[118:119], s[14:15], v[118:119]
	s_delay_alu instid0(VALU_DEP_3) | instskip(SKIP_3) | instid1(VALU_DEP_3)
	v_add_f64_e32 v[48:49], v[58:59], v[48:49]
	v_fma_f64 v[58:59], v[88:89], s[14:15], v[146:147]
	v_mul_f64_e32 v[146:147], s[12:13], v[128:129]
	v_mul_f64_e32 v[128:129], s[26:27], v[128:129]
	v_add_f64_e32 v[50:51], v[58:59], v[50:51]
	v_fma_f64 v[58:59], v[98:99], s[12:13], v[148:149]
	v_mul_f64_e32 v[148:149], s[54:55], v[122:123]
	v_mul_f64_e32 v[122:123], s[28:29], v[122:123]
	s_delay_alu instid0(VALU_DEP_3) | instskip(SKIP_3) | instid1(VALU_DEP_3)
	v_add_f64_e32 v[48:49], v[58:59], v[48:49]
	v_fma_f64 v[58:59], v[92:93], s[24:25], v[150:151]
	v_mul_f64_e32 v[150:151], s[30:31], v[132:133]
	v_mul_f64_e32 v[132:133], s[8:9], v[132:133]
	;; [unrolled: 9-line block ×3, first 2 shown]
	v_add_f64_e32 v[50:51], v[58:59], v[50:51]
	v_fma_f64 v[58:59], v[106:107], s[18:19], v[156:157]
	v_mul_f64_e32 v[156:157], s[50:51], v[130:131]
	v_mul_f64_e32 v[130:131], s[44:45], v[130:131]
	s_delay_alu instid0(VALU_DEP_3) | instskip(SKIP_1) | instid1(VALU_DEP_1)
	v_add_f64_e32 v[48:49], v[58:59], v[48:49]
	v_fma_f64 v[58:59], v[100:101], s[20:21], v[158:159]
	v_add_f64_e32 v[58:59], v[58:59], v[50:51]
	v_fma_f64 v[50:51], v[108:109], s[8:9], v[160:161]
	s_delay_alu instid0(VALU_DEP_1) | instskip(NEXT) | instid1(VALU_DEP_3)
	v_add_f64_e32 v[50:51], v[50:51], v[48:49]
	v_add_f64_e32 v[48:49], v[60:61], v[58:59]
	v_mul_f64_e32 v[60:61], s[38:39], v[112:113]
	v_mul_f64_e32 v[112:113], s[12:13], v[112:113]
	s_delay_alu instid0(VALU_DEP_2) | instskip(SKIP_1) | instid1(VALU_DEP_2)
	v_fma_f64 v[58:59], v[80:81], s[14:15], v[60:61]
	v_fma_f64 v[60:61], v[80:81], s[36:37], v[60:61]
	v_add_f64_e32 v[52:53], v[58:59], v[52:53]
	v_fma_f64 v[58:59], v[86:87], s[38:39], -v[62:63]
	s_delay_alu instid0(VALU_DEP_3) | instskip(SKIP_1) | instid1(VALU_DEP_3)
	v_add_f64_e32 v[60:61], v[60:61], v[138:139]
	v_fma_f64 v[62:63], v[86:87], s[38:39], v[62:63]
	v_add_f64_e32 v[54:55], v[58:59], v[54:55]
	v_fma_f64 v[58:59], v[84:85], s[40:41], v[64:65]
	v_fma_f64 v[64:65], v[84:85], s[52:53], v[64:65]
	s_delay_alu instid0(VALU_DEP_4) | instskip(SKIP_1) | instid1(VALU_DEP_4)
	v_add_f64_e32 v[62:63], v[62:63], v[68:69]
	v_fma_f64 v[68:69], v[108:109], s[22:23], v[156:157]
	v_add_f64_e32 v[52:53], v[58:59], v[52:53]
	v_fma_f64 v[58:59], v[90:91], s[46:47], -v[72:73]
	v_add_f64_e32 v[60:61], v[64:65], v[60:61]
	v_fma_f64 v[64:65], v[90:91], s[46:47], v[72:73]
	s_delay_alu instid0(VALU_DEP_3) | instskip(SKIP_1) | instid1(VALU_DEP_3)
	v_add_f64_e32 v[54:55], v[58:59], v[54:55]
	v_fma_f64 v[58:59], v[88:89], s[2:3], v[74:75]
	v_add_f64_e32 v[62:63], v[64:65], v[62:63]
	v_fma_f64 v[64:65], v[88:89], s[56:57], v[74:75]
	s_delay_alu instid0(VALU_DEP_3) | instskip(SKIP_1) | instid1(VALU_DEP_3)
	v_add_f64_e32 v[52:53], v[58:59], v[52:53]
	v_fma_f64 v[58:59], v[94:95], s[8:9], -v[136:137]
	v_add_f64_e32 v[60:61], v[64:65], v[60:61]
	v_fma_f64 v[64:65], v[94:95], s[8:9], v[136:137]
	s_delay_alu instid0(VALU_DEP_3) | instskip(SKIP_1) | instid1(VALU_DEP_3)
	v_add_f64_e32 v[54:55], v[58:59], v[54:55]
	v_fma_f64 v[58:59], v[92:93], s[48:49], v[140:141]
	v_add_f64_e32 v[62:63], v[64:65], v[62:63]
	v_fma_f64 v[64:65], v[92:93], s[20:21], v[140:141]
	s_delay_alu instid0(VALU_DEP_3) | instskip(SKIP_1) | instid1(VALU_DEP_3)
	;; [unrolled: 10-line block ×5, first 2 shown]
	v_add_f64_e32 v[52:53], v[58:59], v[52:53]
	v_fma_f64 v[58:59], v[108:109], s[22:23], -v[156:157]
	v_add_f64_e32 v[60:61], v[64:65], v[60:61]
	v_fma_f64 v[64:65], v[86:87], s[46:47], v[70:71]
	v_add_f64_e32 v[62:63], v[68:69], v[62:63]
	v_fma_f64 v[68:69], v[90:91], s[8:9], v[204:205]
	v_fma_f64 v[70:71], v[104:105], s[20:21], v[227:228]
	v_add_f64_e32 v[54:55], v[58:59], v[54:55]
	v_fma_f64 v[58:59], v[80:81], s[24:25], v[112:113]
	v_add_f64_e32 v[64:65], v[64:65], v[66:67]
	v_fma_f64 v[66:67], v[80:81], s[40:41], v[202:203]
	s_delay_alu instid0(VALU_DEP_3) | instskip(SKIP_1) | instid1(VALU_DEP_3)
	v_add_f64_e32 v[58:59], v[58:59], v[142:143]
	v_fma_f64 v[142:143], v[86:87], s[12:13], -v[82:83]
	v_add_f64_e32 v[66:67], v[66:67], v[200:201]
	v_add_f64_e32 v[64:65], v[68:69], v[64:65]
	v_fma_f64 v[68:69], v[84:85], s[56:57], v[206:207]
	s_delay_alu instid0(VALU_DEP_4) | instskip(SKIP_1) | instid1(VALU_DEP_3)
	v_add_f64_e32 v[56:57], v[142:143], v[56:57]
	v_fma_f64 v[142:143], v[84:85], s[50:51], v[116:117]
	v_add_f64_e32 v[66:67], v[68:69], v[66:67]
	v_fma_f64 v[68:69], v[94:95], s[12:13], v[209:210]
	s_delay_alu instid0(VALU_DEP_3) | instskip(SKIP_1) | instid1(VALU_DEP_3)
	v_add_f64_e32 v[58:59], v[142:143], v[58:59]
	v_fma_f64 v[142:143], v[90:91], s[22:23], -v[110:111]
	v_add_f64_e32 v[64:65], v[68:69], v[64:65]
	v_fma_f64 v[68:69], v[88:89], s[54:55], v[211:212]
	s_delay_alu instid0(VALU_DEP_3) | instskip(SKIP_1) | instid1(VALU_DEP_3)
	v_add_f64_e32 v[56:57], v[142:143], v[56:57]
	v_fma_f64 v[142:143], v[88:89], s[48:49], v[120:121]
	v_add_f64_e32 v[66:67], v[68:69], v[66:67]
	v_fma_f64 v[68:69], v[98:99], s[26:27], v[213:214]
	s_delay_alu instid0(VALU_DEP_3) | instskip(SKIP_1) | instid1(VALU_DEP_3)
	v_add_f64_e32 v[58:59], v[142:143], v[58:59]
	v_fma_f64 v[142:143], v[94:95], s[18:19], -v[114:115]
	v_add_f64_e32 v[64:65], v[68:69], v[64:65]
	v_fma_f64 v[68:69], v[92:93], s[28:29], v[215:216]
	s_delay_alu instid0(VALU_DEP_3) | instskip(SKIP_1) | instid1(VALU_DEP_3)
	;; [unrolled: 10-line block ×4, first 2 shown]
	v_add_f64_e32 v[56:57], v[142:143], v[56:57]
	v_fma_f64 v[142:143], v[100:101], s[56:57], v[132:133]
	v_add_f64_e32 v[68:69], v[68:69], v[66:67]
	v_fma_f64 v[66:67], v[108:109], s[18:19], v[225:226]
	s_delay_alu instid0(VALU_DEP_3) | instskip(SKIP_1) | instid1(VALU_DEP_3)
	v_add_f64_e32 v[58:59], v[142:143], v[58:59]
	v_fma_f64 v[142:143], v[106:107], s[8:9], -v[126:127]
	v_add_f64_e32 v[66:67], v[66:67], v[64:65]
	v_add_f64_e32 v[64:65], v[70:71], v[68:69]
	v_fma_f64 v[68:69], v[80:81], s[54:55], v[112:113]
	v_fma_f64 v[70:71], v[86:87], s[12:13], v[82:83]
	v_add_f64_e32 v[142:143], v[142:143], v[56:57]
	v_fma_f64 v[56:57], v[104:105], s[44:45], v[134:135]
	s_delay_alu instid0(VALU_DEP_4) | instskip(NEXT) | instid1(VALU_DEP_4)
	v_add_f64_e32 v[20:21], v[68:69], v[20:21]
	v_add_f64_e32 v[22:23], v[70:71], v[22:23]
	v_fma_f64 v[68:69], v[84:85], s[42:43], v[116:117]
	v_fma_f64 v[70:71], v[90:91], s[22:23], v[110:111]
	v_add_f64_e32 v[56:57], v[56:57], v[58:59]
	v_fma_f64 v[58:59], v[108:109], s[30:31], -v[130:131]
	s_delay_alu instid0(VALU_DEP_4) | instskip(NEXT) | instid1(VALU_DEP_4)
	v_add_f64_e32 v[20:21], v[68:69], v[20:21]
	v_add_f64_e32 v[22:23], v[70:71], v[22:23]
	v_fma_f64 v[68:69], v[94:95], s[18:19], v[114:115]
	v_fma_f64 v[70:71], v[88:89], s[20:21], v[120:121]
	v_add_f64_e32 v[58:59], v[58:59], v[142:143]
	ds_store_b128 v0, v[12:15]
	ds_store_b128 v0, v[24:27] offset:16
	ds_store_b128 v0, v[56:59] offset:32
	;; [unrolled: 1-line block ×13, first 2 shown]
	scratch_load_b128 v[8:11], off, off     ; 16-byte Folded Reload
	v_add_f64_e32 v[22:23], v[68:69], v[22:23]
	v_add_f64_e32 v[20:21], v[70:71], v[20:21]
	v_fma_f64 v[68:69], v[98:99], s[38:39], v[118:119]
	v_fma_f64 v[70:71], v[92:93], s[36:37], v[124:125]
	s_delay_alu instid0(VALU_DEP_2) | instskip(NEXT) | instid1(VALU_DEP_2)
	v_add_f64_e32 v[22:23], v[68:69], v[22:23]
	v_add_f64_e32 v[20:21], v[70:71], v[20:21]
	v_fma_f64 v[68:69], v[102:103], s[26:27], v[122:123]
	v_fma_f64 v[70:71], v[96:97], s[0:1], v[128:129]
	s_delay_alu instid0(VALU_DEP_2) | instskip(NEXT) | instid1(VALU_DEP_2)
	;; [unrolled: 5-line block ×4, first 2 shown]
	v_add_f64_e32 v[22:23], v[68:69], v[22:23]
	v_add_f64_e32 v[20:21], v[70:71], v[20:21]
	s_wait_loadcnt 0x0
	ds_store_b128 v0, v[8:11] offset:208
	ds_store_b128 v0, v[20:23] offset:240
	;; [unrolled: 1-line block ×3, first 2 shown]
.LBB0_13:
	s_or_b32 exec_lo, exec_lo, s33
	v_and_b32_e32 v0, 0xff, v208
	s_load_b64 s[2:3], s[6:7], 0x0
	global_wb scope:SCOPE_SE
	s_wait_storecnt_dscnt 0x0
	s_wait_kmcnt 0x0
	s_barrier_signal -1
	s_barrier_wait -1
	v_mul_lo_u16 v0, 0xf1, v0
	global_inv scope:SCOPE_SE
	v_lshl_add_u32 v94, v208, 4, 0
	s_mov_b32 s28, 0x42a4c3d2
	s_mov_b32 s29, 0xbfea55e2
	v_lshrrev_b16 v207, 12, v0
	s_mov_b32 s44, 0x4267c47c
	s_mov_b32 s12, 0x1ea71119
	s_mov_b32 s42, 0x66966769
	s_mov_b32 s22, 0x2ef20147
	v_mul_lo_u16 v0, v207, 17
	s_mov_b32 s36, 0x24c2f84
	s_mov_b32 s24, 0x4bc48dbf
	;; [unrolled: 1-line block ×4, first 2 shown]
	v_sub_nc_u16 v0, v208, v0
	s_mov_b32 s43, 0xbfefc445
	s_mov_b32 s23, 0xbfedeba7
	;; [unrolled: 1-line block ×4, first 2 shown]
	v_and_b32_e32 v255, 0xff, v0
	s_mov_b32 s18, 0xe00740e9
	s_mov_b32 s14, 0xebaa3ed8
	;; [unrolled: 1-line block ×4, first 2 shown]
	v_mul_u32_u24_e32 v0, 12, v255
	s_mov_b32 s0, 0x93053d00
	s_mov_b32 s19, 0x3fec55a7
	;; [unrolled: 1-line block ×4, first 2 shown]
	v_lshlrev_b32_e32 v42, 4, v0
	s_mov_b32 s7, 0xbfe7f3cc
	s_mov_b32 s1, 0xbfef11f4
	s_mov_b32 s41, 0x3fddbe06
	s_mov_b32 s39, 0x3fea55e2
	s_clause 0x3
	global_load_b128 v[8:11], v42, s[4:5]
	global_load_b128 v[12:15], v42, s[4:5] offset:16
	global_load_b128 v[16:19], v42, s[4:5] offset:176
	;; [unrolled: 1-line block ×3, first 2 shown]
	ds_load_b128 v[24:27], v94 offset:816
	ds_load_b128 v[68:71], v94
	ds_load_b128 v[28:31], v94 offset:1632
	ds_load_b128 v[32:35], v94 offset:2448
	s_mov_b32 s35, 0x3fefc445
	s_mov_b32 s31, 0x3fedeba7
	;; [unrolled: 1-line block ×4, first 2 shown]
	s_wait_alu 0xfffe
	s_mov_b32 s40, s44
	s_mov_b32 s38, s28
	;; [unrolled: 1-line block ×6, first 2 shown]
	s_wait_loadcnt_dscnt 0x303
	v_mul_f64_e32 v[36:37], v[26:27], v[10:11]
	v_mul_f64_e32 v[10:11], v[24:25], v[10:11]
	s_wait_loadcnt_dscnt 0x201
	v_mul_f64_e32 v[38:39], v[28:29], v[14:15]
	v_mul_f64_e32 v[14:15], v[30:31], v[14:15]
	s_delay_alu instid0(VALU_DEP_4) | instskip(NEXT) | instid1(VALU_DEP_4)
	v_fma_f64 v[72:73], v[24:25], v[8:9], v[36:37]
	v_fma_f64 v[74:75], v[26:27], v[8:9], -v[10:11]
	ds_load_b128 v[8:11], v94 offset:9792
	v_fma_f64 v[26:27], v[28:29], v[12:13], v[14:15]
	v_fma_f64 v[24:25], v[30:31], v[12:13], -v[38:39]
	ds_load_b128 v[28:31], v94 offset:8976
	s_wait_loadcnt_dscnt 0x101
	v_mul_f64_e32 v[36:37], v[8:9], v[18:19]
	v_mul_f64_e32 v[14:15], v[10:11], v[18:19]
	s_delay_alu instid0(VALU_DEP_2) | instskip(NEXT) | instid1(VALU_DEP_2)
	v_fma_f64 v[12:13], v[10:11], v[16:17], -v[36:37]
	v_fma_f64 v[14:15], v[8:9], v[16:17], v[14:15]
	ds_load_b128 v[8:11], v94 offset:8160
	s_wait_loadcnt_dscnt 0x1
	v_mul_f64_e32 v[16:17], v[28:29], v[22:23]
	v_mul_f64_e32 v[18:19], v[30:31], v[22:23]
	v_add_f64_e64 v[103:104], v[72:73], -v[14:15]
	s_delay_alu instid0(VALU_DEP_3) | instskip(NEXT) | instid1(VALU_DEP_3)
	v_fma_f64 v[16:17], v[30:31], v[20:21], -v[16:17]
	v_fma_f64 v[18:19], v[28:29], v[20:21], v[18:19]
	s_clause 0x1
	global_load_b128 v[20:23], v42, s[4:5] offset:32
	global_load_b128 v[38:41], v42, s[4:5] offset:48
	v_add_f64_e64 v[135:136], v[24:25], -v[16:17]
	v_add_f64_e32 v[137:138], v[24:25], v[16:17]
	s_delay_alu instid0(VALU_DEP_2) | instskip(SKIP_1) | instid1(VALU_DEP_3)
	v_mul_f64_e32 v[183:184], s[22:23], v[135:136]
	v_mul_f64_e32 v[201:202], s[24:25], v[135:136]
	;; [unrolled: 1-line block ×3, first 2 shown]
	s_wait_alu 0xfffe
	v_mul_f64_e32 v[223:224], s[26:27], v[135:136]
	v_mul_f64_e32 v[225:226], s[6:7], v[137:138]
	;; [unrolled: 1-line block ×4, first 2 shown]
	s_wait_loadcnt 0x1
	v_mul_f64_e32 v[28:29], v[34:35], v[22:23]
	v_mul_f64_e32 v[22:23], v[32:33], v[22:23]
	s_delay_alu instid0(VALU_DEP_2) | instskip(NEXT) | instid1(VALU_DEP_2)
	v_fma_f64 v[28:29], v[32:33], v[20:21], v[28:29]
	v_fma_f64 v[30:31], v[34:35], v[20:21], -v[22:23]
	s_clause 0x1
	global_load_b128 v[32:35], v42, s[4:5] offset:144
	global_load_b128 v[43:46], v42, s[4:5] offset:128
	s_wait_loadcnt_dscnt 0x100
	v_mul_f64_e32 v[20:21], v[10:11], v[34:35]
	s_delay_alu instid0(VALU_DEP_1) | instskip(SKIP_1) | instid1(VALU_DEP_2)
	v_fma_f64 v[20:21], v[8:9], v[32:33], v[20:21]
	v_mul_f64_e32 v[8:9], v[8:9], v[34:35]
	v_add_f64_e64 v[143:144], v[28:29], -v[20:21]
	s_delay_alu instid0(VALU_DEP_2)
	v_fma_f64 v[22:23], v[10:11], v[32:33], -v[8:9]
	ds_load_b128 v[8:11], v94 offset:3264
	ds_load_b128 v[47:50], v94 offset:4080
	s_wait_dscnt 0x1
	v_mul_f64_e32 v[32:33], v[10:11], v[40:41]
	v_add_f64_e64 v[139:140], v[30:31], -v[22:23]
	v_add_f64_e32 v[141:142], v[30:31], v[22:23]
	s_delay_alu instid0(VALU_DEP_3) | instskip(SKIP_1) | instid1(VALU_DEP_4)
	v_fma_f64 v[36:37], v[8:9], v[38:39], v[32:33]
	v_mul_f64_e32 v[8:9], v[8:9], v[40:41]
	v_mul_f64_e32 v[185:186], s[24:25], v[139:140]
	s_delay_alu instid0(VALU_DEP_4)
	v_mul_f64_e32 v[145:146], s[14:15], v[141:142]
	v_mul_f64_e32 v[187:188], s[0:1], v[141:142]
	;; [unrolled: 1-line block ×7, first 2 shown]
	v_fma_f64 v[38:39], v[10:11], v[38:39], -v[8:9]
	ds_load_b128 v[8:11], v94 offset:7344
	ds_load_b128 v[51:54], v94 offset:6528
	s_wait_loadcnt_dscnt 0x1
	v_mul_f64_e32 v[32:33], v[10:11], v[45:46]
	s_delay_alu instid0(VALU_DEP_1) | instskip(SKIP_1) | instid1(VALU_DEP_2)
	v_fma_f64 v[32:33], v[8:9], v[43:44], v[32:33]
	v_mul_f64_e32 v[8:9], v[8:9], v[45:46]
	v_add_f64_e32 v[149:150], v[36:37], v[32:33]
	s_delay_alu instid0(VALU_DEP_2)
	v_fma_f64 v[34:35], v[10:11], v[43:44], -v[8:9]
	s_clause 0x1
	global_load_b128 v[8:11], v42, s[4:5] offset:64
	global_load_b128 v[55:58], v42, s[4:5] offset:80
	v_add_f64_e64 v[155:156], v[36:37], -v[32:33]
	v_add_f64_e64 v[147:148], v[38:39], -v[34:35]
	v_add_f64_e32 v[153:154], v[38:39], v[34:35]
	s_delay_alu instid0(VALU_DEP_2) | instskip(NEXT) | instid1(VALU_DEP_2)
	v_mul_f64_e32 v[151:152], s[22:23], v[147:148]
	v_mul_f64_e32 v[157:158], s[8:9], v[153:154]
	;; [unrolled: 1-line block ×10, first 2 shown]
	s_wait_loadcnt 0x1
	v_mul_f64_e32 v[40:41], v[49:50], v[10:11]
	v_mul_f64_e32 v[10:11], v[47:48], v[10:11]
	s_delay_alu instid0(VALU_DEP_2) | instskip(NEXT) | instid1(VALU_DEP_2)
	v_fma_f64 v[40:41], v[47:48], v[8:9], v[40:41]
	v_fma_f64 v[44:45], v[49:50], v[8:9], -v[10:11]
	s_clause 0x1
	global_load_b128 v[8:11], v42, s[4:5] offset:112
	global_load_b128 v[59:62], v42, s[4:5] offset:96
	s_wait_loadcnt_dscnt 0x100
	v_mul_f64_e32 v[42:43], v[53:54], v[10:11]
	v_mul_f64_e32 v[10:11], v[51:52], v[10:11]
	s_delay_alu instid0(VALU_DEP_2) | instskip(NEXT) | instid1(VALU_DEP_2)
	v_fma_f64 v[42:43], v[51:52], v[8:9], v[42:43]
	v_fma_f64 v[46:47], v[53:54], v[8:9], -v[10:11]
	ds_load_b128 v[8:11], v94 offset:4896
	ds_load_b128 v[63:66], v94 offset:5712
	global_wb scope:SCOPE_SE
	s_wait_loadcnt_dscnt 0x0
	s_barrier_signal -1
	s_barrier_wait -1
	global_inv scope:SCOPE_SE
	v_mul_f64_e32 v[48:49], v[10:11], v[57:58]
	v_add_f64_e32 v[161:162], v[40:41], v[42:43]
	v_add_f64_e64 v[159:160], v[44:45], -v[46:47]
	v_add_f64_e32 v[165:166], v[44:45], v[46:47]
	v_add_f64_e64 v[167:168], v[40:41], -v[42:43]
	v_fma_f64 v[48:49], v[8:9], v[55:56], v[48:49]
	v_mul_f64_e32 v[8:9], v[8:9], v[57:58]
	v_mul_f64_e32 v[163:164], s[36:37], v[159:160]
	;; [unrolled: 1-line block ×11, first 2 shown]
	v_fma_f64 v[50:51], v[10:11], v[55:56], -v[8:9]
	v_mul_f64_e32 v[8:9], v[65:66], v[61:62]
	s_delay_alu instid0(VALU_DEP_1) | instskip(SKIP_1) | instid1(VALU_DEP_2)
	v_fma_f64 v[52:53], v[63:64], v[59:60], v[8:9]
	v_mul_f64_e32 v[8:9], v[63:64], v[61:62]
	v_add_f64_e32 v[173:174], v[48:49], v[52:53]
	s_delay_alu instid0(VALU_DEP_2) | instskip(SKIP_3) | instid1(VALU_DEP_4)
	v_fma_f64 v[54:55], v[65:66], v[59:60], -v[8:9]
	v_add_f64_e64 v[8:9], v[74:75], -v[12:13]
	v_add_f64_e32 v[64:65], v[72:73], v[14:15]
	v_add_f64_e64 v[179:180], v[48:49], -v[52:53]
	v_add_f64_e64 v[171:172], v[50:51], -v[54:55]
	s_delay_alu instid0(VALU_DEP_4)
	v_mul_f64_e32 v[56:57], s[28:29], v[8:9]
	v_mul_f64_e32 v[10:11], s[44:45], v[8:9]
	;; [unrolled: 1-line block ×6, first 2 shown]
	v_add_f64_e32 v[177:178], v[50:51], v[54:55]
	v_mul_f64_e32 v[175:176], s[24:25], v[171:172]
	v_fma_f64 v[80:81], v[64:65], s[12:13], v[56:57]
	v_fma_f64 v[82:83], v[64:65], s[12:13], -v[56:57]
	v_add_f64_e32 v[56:57], v[74:75], v[12:13]
	v_fma_f64 v[66:67], v[64:65], s[18:19], v[10:11]
	v_fma_f64 v[10:11], v[64:65], s[18:19], -v[10:11]
	v_fma_f64 v[84:85], v[64:65], s[14:15], v[58:59]
	v_fma_f64 v[86:87], v[64:65], s[14:15], -v[58:59]
	;; [unrolled: 2-line block ×5, first 2 shown]
	v_mul_f64_e32 v[181:182], s[0:1], v[177:178]
	v_mul_f64_e32 v[197:198], s[40:41], v[171:172]
	;; [unrolled: 1-line block ×8, first 2 shown]
	v_add_f64_e32 v[125:126], v[68:69], v[80:81]
	v_add_f64_e32 v[80:81], v[28:29], v[20:21]
	v_mul_f64_e32 v[58:59], s[18:19], v[56:57]
	v_mul_f64_e32 v[60:61], s[12:13], v[56:57]
	;; [unrolled: 1-line block ×6, first 2 shown]
	v_add_f64_e32 v[10:11], v[68:69], v[10:11]
	v_add_f64_e32 v[86:87], v[68:69], v[86:87]
	;; [unrolled: 1-line block ×5, first 2 shown]
	v_fma_f64 v[2:3], v[173:174], s[8:9], v[0:1]
	v_fma_f64 v[0:1], v[173:174], s[8:9], -v[0:1]
	v_fma_f64 v[99:100], v[80:81], s[0:1], v[185:186]
	v_fma_f64 v[105:106], v[103:104], s[44:45], v[58:59]
	;; [unrolled: 1-line block ×13, first 2 shown]
	v_add_f64_e32 v[56:57], v[68:69], v[72:73]
	v_add_f64_e32 v[58:59], v[70:71], v[74:75]
	;; [unrolled: 1-line block ×4, first 2 shown]
	v_add_f64_e64 v[72:73], v[26:27], -v[18:19]
	v_mul_f64_e32 v[74:75], s[12:13], v[137:138]
	v_mul_f64_e32 v[82:83], s[42:43], v[139:140]
	v_add_f64_e32 v[105:106], v[70:71], v[105:106]
	v_add_f64_e32 v[62:63], v[70:71], v[107:108]
	;; [unrolled: 1-line block ×17, first 2 shown]
	v_mul_f64_e32 v[70:71], s[28:29], v[135:136]
	v_fma_f64 v[95:96], v[80:81], s[14:15], -v[82:83]
	v_fma_f64 v[101:102], v[72:73], s[20:21], v[203:204]
	v_fma_f64 v[103:104], v[80:81], s[8:9], v[205:206]
	s_delay_alu instid0(VALU_DEP_4) | instskip(NEXT) | instid1(VALU_DEP_3)
	v_fma_f64 v[8:9], v[68:69], s[12:13], -v[70:71]
	v_add_f64_e32 v[101:102], v[101:102], v[111:112]
	s_delay_alu instid0(VALU_DEP_2) | instskip(SKIP_1) | instid1(VALU_DEP_2)
	v_add_f64_e32 v[8:9], v[8:9], v[10:11]
	v_fma_f64 v[10:11], v[72:73], s[28:29], v[74:75]
	v_add_f64_e32 v[8:9], v[95:96], v[8:9]
	s_delay_alu instid0(VALU_DEP_2) | instskip(SKIP_2) | instid1(VALU_DEP_2)
	v_add_f64_e32 v[10:11], v[10:11], v[105:106]
	v_fma_f64 v[95:96], v[143:144], s[42:43], v[145:146]
	v_fma_f64 v[105:106], v[72:73], s[36:37], v[225:226]
	v_add_f64_e32 v[10:11], v[95:96], v[10:11]
	v_fma_f64 v[95:96], v[149:150], s[8:9], -v[151:152]
	s_delay_alu instid0(VALU_DEP_3) | instskip(SKIP_1) | instid1(VALU_DEP_3)
	v_add_f64_e32 v[105:106], v[105:106], v[115:116]
	v_mul_f64_e32 v[115:116], s[40:41], v[135:136]
	v_add_f64_e32 v[8:9], v[95:96], v[8:9]
	v_fma_f64 v[95:96], v[155:156], s[22:23], v[157:158]
	s_delay_alu instid0(VALU_DEP_1) | instskip(SKIP_1) | instid1(VALU_DEP_1)
	v_add_f64_e32 v[10:11], v[95:96], v[10:11]
	v_fma_f64 v[95:96], v[161:162], s[6:7], -v[163:164]
	v_add_f64_e32 v[8:9], v[95:96], v[8:9]
	v_fma_f64 v[95:96], v[167:168], s[36:37], v[169:170]
	s_delay_alu instid0(VALU_DEP_1) | instskip(SKIP_1) | instid1(VALU_DEP_1)
	v_add_f64_e32 v[10:11], v[95:96], v[10:11]
	v_fma_f64 v[95:96], v[173:174], s[0:1], -v[175:176]
	v_add_f64_e32 v[8:9], v[95:96], v[8:9]
	v_fma_f64 v[95:96], v[179:180], s[24:25], v[181:182]
	s_delay_alu instid0(VALU_DEP_1) | instskip(SKIP_1) | instid1(VALU_DEP_1)
	v_add_f64_e32 v[10:11], v[95:96], v[10:11]
	v_fma_f64 v[95:96], v[68:69], s[8:9], v[183:184]
	v_add_f64_e32 v[95:96], v[95:96], v[125:126]
	v_mul_f64_e32 v[125:126], s[8:9], v[137:138]
	s_delay_alu instid0(VALU_DEP_2) | instskip(NEXT) | instid1(VALU_DEP_2)
	v_add_f64_e32 v[95:96], v[99:100], v[95:96]
	v_fma_f64 v[97:98], v[72:73], s[30:31], v[125:126]
	v_fma_f64 v[99:100], v[143:144], s[20:21], v[187:188]
	s_delay_alu instid0(VALU_DEP_2) | instskip(SKIP_1) | instid1(VALU_DEP_2)
	v_add_f64_e32 v[97:98], v[97:98], v[109:110]
	v_fma_f64 v[109:110], v[72:73], s[42:43], v[245:246]
	v_add_f64_e32 v[97:98], v[99:100], v[97:98]
	v_fma_f64 v[99:100], v[149:150], s[6:7], v[189:190]
	s_delay_alu instid0(VALU_DEP_3) | instskip(SKIP_1) | instid1(VALU_DEP_3)
	v_add_f64_e32 v[109:110], v[109:110], v[119:120]
	v_mul_f64_e32 v[119:120], s[28:29], v[139:140]
	v_add_f64_e32 v[95:96], v[99:100], v[95:96]
	v_fma_f64 v[99:100], v[155:156], s[36:37], v[191:192]
	s_delay_alu instid0(VALU_DEP_3) | instskip(SKIP_1) | instid1(VALU_DEP_3)
	v_fma_f64 v[111:112], v[80:81], s[12:13], v[119:120]
	v_fma_f64 v[119:120], v[80:81], s[12:13], -v[119:120]
	v_add_f64_e32 v[97:98], v[99:100], v[97:98]
	v_fma_f64 v[99:100], v[161:162], s[14:15], v[193:194]
	s_delay_alu instid0(VALU_DEP_1) | instskip(SKIP_1) | instid1(VALU_DEP_1)
	v_add_f64_e32 v[95:96], v[99:100], v[95:96]
	v_fma_f64 v[99:100], v[167:168], s[42:43], v[195:196]
	v_add_f64_e32 v[97:98], v[99:100], v[97:98]
	v_fma_f64 v[99:100], v[173:174], s[18:19], v[197:198]
	s_delay_alu instid0(VALU_DEP_1) | instskip(SKIP_1) | instid1(VALU_DEP_1)
	v_add_f64_e32 v[95:96], v[99:100], v[95:96]
	v_fma_f64 v[99:100], v[179:180], s[44:45], v[199:200]
	v_add_f64_e32 v[97:98], v[99:100], v[97:98]
	v_fma_f64 v[99:100], v[68:69], s[0:1], v[201:202]
	s_delay_alu instid0(VALU_DEP_1) | instskip(SKIP_1) | instid1(VALU_DEP_2)
	v_add_f64_e32 v[99:100], v[99:100], v[107:108]
	v_fma_f64 v[107:108], v[80:81], s[18:19], v[227:228]
	v_add_f64_e32 v[99:100], v[103:104], v[99:100]
	v_fma_f64 v[103:104], v[143:144], s[22:23], v[209:210]
	s_delay_alu instid0(VALU_DEP_1) | instskip(SKIP_1) | instid1(VALU_DEP_1)
	v_add_f64_e32 v[101:102], v[103:104], v[101:102]
	v_fma_f64 v[103:104], v[149:150], s[18:19], v[211:212]
	v_add_f64_e32 v[99:100], v[103:104], v[99:100]
	v_fma_f64 v[103:104], v[155:156], s[44:45], v[213:214]
	s_delay_alu instid0(VALU_DEP_1) | instskip(SKIP_1) | instid1(VALU_DEP_1)
	;; [unrolled: 5-line block ×4, first 2 shown]
	v_add_f64_e32 v[101:102], v[103:104], v[101:102]
	v_fma_f64 v[103:104], v[68:69], s[6:7], v[223:224]
	v_add_f64_e32 v[103:104], v[103:104], v[113:114]
	s_delay_alu instid0(VALU_DEP_1) | instskip(SKIP_1) | instid1(VALU_DEP_1)
	v_add_f64_e32 v[103:104], v[107:108], v[103:104]
	v_fma_f64 v[107:108], v[143:144], s[44:45], v[229:230]
	v_add_f64_e32 v[105:106], v[107:108], v[105:106]
	v_fma_f64 v[107:108], v[149:150], s[14:15], v[231:232]
	s_delay_alu instid0(VALU_DEP_1) | instskip(SKIP_1) | instid1(VALU_DEP_1)
	v_add_f64_e32 v[103:104], v[107:108], v[103:104]
	v_fma_f64 v[107:108], v[155:156], s[34:35], v[233:234]
	v_add_f64_e32 v[105:106], v[107:108], v[105:106]
	v_fma_f64 v[107:108], v[161:162], s[0:1], v[235:236]
	;; [unrolled: 5-line block ×4, first 2 shown]
	s_delay_alu instid0(VALU_DEP_1) | instskip(SKIP_1) | instid1(VALU_DEP_2)
	v_add_f64_e32 v[107:108], v[107:108], v[117:118]
	v_mul_f64_e32 v[117:118], s[18:19], v[137:138]
	v_add_f64_e32 v[107:108], v[111:112], v[107:108]
	v_fma_f64 v[111:112], v[143:144], s[38:39], v[247:248]
	s_delay_alu instid0(VALU_DEP_3) | instskip(SKIP_1) | instid1(VALU_DEP_3)
	v_fma_f64 v[113:114], v[72:73], s[44:45], v[117:118]
	v_fma_f64 v[117:118], v[72:73], s[40:41], v[117:118]
	v_add_f64_e32 v[109:110], v[111:112], v[109:110]
	v_fma_f64 v[111:112], v[149:150], s[0:1], v[249:250]
	s_delay_alu instid0(VALU_DEP_4) | instskip(SKIP_2) | instid1(VALU_DEP_4)
	v_add_f64_e32 v[113:114], v[113:114], v[123:124]
	v_mul_f64_e32 v[123:124], s[36:37], v[139:140]
	v_add_f64_e32 v[117:118], v[117:118], v[133:134]
	v_add_f64_e32 v[107:108], v[111:112], v[107:108]
	v_fma_f64 v[111:112], v[155:156], s[24:25], v[251:252]
	s_delay_alu instid0(VALU_DEP_1) | instskip(SKIP_1) | instid1(VALU_DEP_1)
	v_add_f64_e32 v[109:110], v[111:112], v[109:110]
	v_fma_f64 v[111:112], v[161:162], s[18:19], v[253:254]
	v_add_f64_e32 v[107:108], v[111:112], v[107:108]
	v_fma_f64 v[111:112], v[167:168], s[44:45], v[92:93]
	v_fma_f64 v[92:93], v[167:168], s[40:41], v[92:93]
	s_delay_alu instid0(VALU_DEP_3) | instskip(SKIP_1) | instid1(VALU_DEP_4)
	v_add_f64_e32 v[107:108], v[2:3], v[107:108]
	v_mul_f64_e32 v[2:3], s[8:9], v[177:178]
	v_add_f64_e32 v[109:110], v[111:112], v[109:110]
	s_delay_alu instid0(VALU_DEP_2) | instskip(SKIP_1) | instid1(VALU_DEP_2)
	v_fma_f64 v[111:112], v[179:180], s[30:31], v[2:3]
	v_fma_f64 v[2:3], v[179:180], s[22:23], v[2:3]
	v_add_f64_e32 v[109:110], v[111:112], v[109:110]
	v_fma_f64 v[111:112], v[68:69], s[18:19], v[115:116]
	v_fma_f64 v[115:116], v[68:69], s[18:19], -v[115:116]
	s_delay_alu instid0(VALU_DEP_2) | instskip(SKIP_1) | instid1(VALU_DEP_3)
	v_add_f64_e32 v[111:112], v[111:112], v[129:130]
	v_fma_f64 v[129:130], v[80:81], s[6:7], v[123:124]
	v_add_f64_e32 v[115:116], v[115:116], v[131:132]
	v_fma_f64 v[123:124], v[80:81], s[6:7], -v[123:124]
	s_delay_alu instid0(VALU_DEP_3) | instskip(SKIP_1) | instid1(VALU_DEP_3)
	v_add_f64_e32 v[111:112], v[129:130], v[111:112]
	v_mul_f64_e32 v[129:130], s[6:7], v[141:142]
	v_add_f64_e32 v[115:116], v[123:124], v[115:116]
	s_delay_alu instid0(VALU_DEP_2) | instskip(SKIP_1) | instid1(VALU_DEP_2)
	v_fma_f64 v[135:136], v[143:144], s[26:27], v[129:130]
	v_fma_f64 v[123:124], v[143:144], s[36:37], v[129:130]
	v_add_f64_e32 v[113:114], v[135:136], v[113:114]
	v_mul_f64_e32 v[135:136], s[38:39], v[147:148]
	s_delay_alu instid0(VALU_DEP_3) | instskip(NEXT) | instid1(VALU_DEP_2)
	v_add_f64_e32 v[117:118], v[123:124], v[117:118]
	v_fma_f64 v[137:138], v[149:150], s[12:13], v[135:136]
	v_fma_f64 v[123:124], v[149:150], s[12:13], -v[135:136]
	s_delay_alu instid0(VALU_DEP_2) | instskip(SKIP_1) | instid1(VALU_DEP_3)
	v_add_f64_e32 v[111:112], v[137:138], v[111:112]
	v_mul_f64_e32 v[137:138], s[12:13], v[153:154]
	v_add_f64_e32 v[115:116], v[123:124], v[115:116]
	v_mul_f64_e32 v[153:154], s[14:15], v[177:178]
	s_delay_alu instid0(VALU_DEP_3) | instskip(SKIP_1) | instid1(VALU_DEP_3)
	v_fma_f64 v[139:140], v[155:156], s[28:29], v[137:138]
	v_fma_f64 v[123:124], v[155:156], s[38:39], v[137:138]
	;; [unrolled: 1-line block ×3, first 2 shown]
	s_delay_alu instid0(VALU_DEP_3) | instskip(SKIP_1) | instid1(VALU_DEP_4)
	v_add_f64_e32 v[113:114], v[139:140], v[113:114]
	v_mul_f64_e32 v[139:140], s[22:23], v[159:160]
	v_add_f64_e32 v[117:118], v[123:124], v[117:118]
	s_delay_alu instid0(VALU_DEP_2) | instskip(SKIP_1) | instid1(VALU_DEP_2)
	v_fma_f64 v[141:142], v[161:162], s[8:9], v[139:140]
	v_fma_f64 v[123:124], v[161:162], s[8:9], -v[139:140]
	v_add_f64_e32 v[111:112], v[141:142], v[111:112]
	v_mul_f64_e32 v[141:142], s[8:9], v[165:166]
	s_delay_alu instid0(VALU_DEP_3) | instskip(NEXT) | instid1(VALU_DEP_2)
	v_add_f64_e32 v[115:116], v[123:124], v[115:116]
	v_fma_f64 v[147:148], v[167:168], s[30:31], v[141:142]
	v_fma_f64 v[123:124], v[167:168], s[22:23], v[141:142]
	s_delay_alu instid0(VALU_DEP_2) | instskip(SKIP_1) | instid1(VALU_DEP_3)
	v_add_f64_e32 v[113:114], v[147:148], v[113:114]
	v_mul_f64_e32 v[147:148], s[34:35], v[171:172]
	v_add_f64_e32 v[117:118], v[123:124], v[117:118]
	s_delay_alu instid0(VALU_DEP_2) | instskip(SKIP_1) | instid1(VALU_DEP_3)
	v_fma_f64 v[123:124], v[173:174], s[14:15], -v[147:148]
	v_fma_f64 v[159:160], v[173:174], s[14:15], v[147:148]
	v_add_f64_e32 v[117:118], v[129:130], v[117:118]
	s_delay_alu instid0(VALU_DEP_3) | instskip(SKIP_1) | instid1(VALU_DEP_4)
	v_add_f64_e32 v[115:116], v[123:124], v[115:116]
	v_fma_f64 v[123:124], v[68:69], s[14:15], -v[243:244]
	v_add_f64_e32 v[111:112], v[159:160], v[111:112]
	v_fma_f64 v[159:160], v[179:180], s[42:43], v[153:154]
	s_delay_alu instid0(VALU_DEP_3) | instskip(SKIP_1) | instid1(VALU_DEP_3)
	v_add_f64_e32 v[121:122], v[123:124], v[121:122]
	v_fma_f64 v[123:124], v[72:73], s[34:35], v[245:246]
	v_add_f64_e32 v[113:114], v[159:160], v[113:114]
	s_delay_alu instid0(VALU_DEP_3) | instskip(NEXT) | instid1(VALU_DEP_3)
	v_add_f64_e32 v[119:120], v[119:120], v[121:122]
	v_add_f64_e32 v[123:124], v[123:124], v[127:128]
	v_fma_f64 v[121:122], v[143:144], s[28:29], v[247:248]
	s_delay_alu instid0(VALU_DEP_1) | instskip(SKIP_1) | instid1(VALU_DEP_1)
	v_add_f64_e32 v[121:122], v[121:122], v[123:124]
	v_fma_f64 v[123:124], v[149:150], s[0:1], -v[249:250]
	v_add_f64_e32 v[119:120], v[123:124], v[119:120]
	v_fma_f64 v[123:124], v[155:156], s[20:21], v[251:252]
	s_delay_alu instid0(VALU_DEP_1) | instskip(SKIP_1) | instid1(VALU_DEP_2)
	v_add_f64_e32 v[121:122], v[123:124], v[121:122]
	v_fma_f64 v[123:124], v[161:162], s[18:19], -v[253:254]
	v_add_f64_e32 v[92:93], v[92:93], v[121:122]
	s_delay_alu instid0(VALU_DEP_2) | instskip(NEXT) | instid1(VALU_DEP_2)
	v_add_f64_e32 v[119:120], v[123:124], v[119:120]
	v_add_f64_e32 v[121:122], v[2:3], v[92:93]
	s_delay_alu instid0(VALU_DEP_2) | instskip(SKIP_2) | instid1(VALU_DEP_2)
	v_add_f64_e32 v[119:120], v[0:1], v[119:120]
	v_fma_f64 v[0:1], v[68:69], s[6:7], -v[223:224]
	v_fma_f64 v[2:3], v[72:73], s[26:27], v[225:226]
	v_add_f64_e32 v[0:1], v[0:1], v[90:91]
	s_delay_alu instid0(VALU_DEP_2) | instskip(SKIP_2) | instid1(VALU_DEP_2)
	v_add_f64_e32 v[2:3], v[2:3], v[88:89]
	v_fma_f64 v[88:89], v[80:81], s[18:19], -v[227:228]
	v_fma_f64 v[90:91], v[179:180], s[38:39], v[241:242]
	v_add_f64_e32 v[0:1], v[88:89], v[0:1]
	v_fma_f64 v[88:89], v[143:144], s[40:41], v[229:230]
	s_delay_alu instid0(VALU_DEP_1) | instskip(SKIP_1) | instid1(VALU_DEP_1)
	v_add_f64_e32 v[2:3], v[88:89], v[2:3]
	v_fma_f64 v[88:89], v[149:150], s[14:15], -v[231:232]
	v_add_f64_e32 v[0:1], v[88:89], v[0:1]
	v_fma_f64 v[88:89], v[155:156], s[42:43], v[233:234]
	s_delay_alu instid0(VALU_DEP_1) | instskip(SKIP_1) | instid1(VALU_DEP_1)
	v_add_f64_e32 v[2:3], v[88:89], v[2:3]
	v_fma_f64 v[88:89], v[161:162], s[0:1], -v[235:236]
	v_add_f64_e32 v[0:1], v[88:89], v[0:1]
	v_fma_f64 v[88:89], v[167:168], s[20:21], v[237:238]
	s_delay_alu instid0(VALU_DEP_1) | instskip(SKIP_1) | instid1(VALU_DEP_2)
	v_add_f64_e32 v[2:3], v[88:89], v[2:3]
	v_fma_f64 v[88:89], v[173:174], s[12:13], -v[239:240]
	v_add_f64_e32 v[90:91], v[90:91], v[2:3]
	s_delay_alu instid0(VALU_DEP_2) | instskip(SKIP_2) | instid1(VALU_DEP_2)
	v_add_f64_e32 v[88:89], v[88:89], v[0:1]
	v_fma_f64 v[0:1], v[68:69], s[0:1], -v[201:202]
	v_fma_f64 v[2:3], v[72:73], s[24:25], v[203:204]
	v_add_f64_e32 v[0:1], v[0:1], v[86:87]
	s_delay_alu instid0(VALU_DEP_2) | instskip(SKIP_2) | instid1(VALU_DEP_2)
	v_add_f64_e32 v[2:3], v[2:3], v[84:85]
	v_fma_f64 v[84:85], v[80:81], s[8:9], -v[205:206]
	v_fma_f64 v[86:87], v[179:180], s[36:37], v[221:222]
	v_add_f64_e32 v[0:1], v[84:85], v[0:1]
	v_fma_f64 v[84:85], v[143:144], s[30:31], v[209:210]
	s_delay_alu instid0(VALU_DEP_1) | instskip(SKIP_1) | instid1(VALU_DEP_1)
	v_add_f64_e32 v[2:3], v[84:85], v[2:3]
	v_fma_f64 v[84:85], v[149:150], s[18:19], -v[211:212]
	v_add_f64_e32 v[0:1], v[84:85], v[0:1]
	v_fma_f64 v[84:85], v[155:156], s[40:41], v[213:214]
	s_delay_alu instid0(VALU_DEP_1) | instskip(SKIP_1) | instid1(VALU_DEP_1)
	v_add_f64_e32 v[2:3], v[84:85], v[2:3]
	v_fma_f64 v[84:85], v[161:162], s[12:13], -v[215:216]
	v_add_f64_e32 v[0:1], v[84:85], v[0:1]
	v_fma_f64 v[84:85], v[167:168], s[28:29], v[217:218]
	s_delay_alu instid0(VALU_DEP_1) | instskip(SKIP_1) | instid1(VALU_DEP_2)
	v_add_f64_e32 v[2:3], v[84:85], v[2:3]
	v_fma_f64 v[84:85], v[173:174], s[6:7], -v[219:220]
	;; [unrolled: 25-line block ×3, first 2 shown]
	v_add_f64_e32 v[66:67], v[66:67], v[2:3]
	s_delay_alu instid0(VALU_DEP_2) | instskip(SKIP_4) | instid1(VALU_DEP_4)
	v_add_f64_e32 v[64:65], v[64:65], v[0:1]
	v_fma_f64 v[0:1], v[68:69], s[12:13], v[70:71]
	v_fma_f64 v[2:3], v[72:73], s[38:39], v[74:75]
	;; [unrolled: 1-line block ×4, first 2 shown]
	v_add_f64_e32 v[0:1], v[0:1], v[60:61]
	s_delay_alu instid0(VALU_DEP_4) | instskip(SKIP_2) | instid1(VALU_DEP_4)
	v_add_f64_e32 v[2:3], v[2:3], v[62:63]
	v_fma_f64 v[60:61], v[149:150], s[8:9], v[151:152]
	v_fma_f64 v[62:63], v[155:156], s[30:31], v[157:158]
	v_add_f64_e32 v[0:1], v[68:69], v[0:1]
	s_delay_alu instid0(VALU_DEP_4) | instskip(SKIP_2) | instid1(VALU_DEP_4)
	v_add_f64_e32 v[2:3], v[70:71], v[2:3]
	v_fma_f64 v[68:69], v[161:162], s[6:7], v[163:164]
	v_fma_f64 v[70:71], v[167:168], s[26:27], v[169:170]
	v_add_f64_e32 v[0:1], v[60:61], v[0:1]
	s_delay_alu instid0(VALU_DEP_4)
	v_add_f64_e32 v[2:3], v[62:63], v[2:3]
	v_fma_f64 v[60:61], v[173:174], s[0:1], v[175:176]
	v_fma_f64 v[62:63], v[179:180], s[20:21], v[181:182]
	v_cmp_gt_u32_e64 s0, 17, v208
	v_add_f64_e32 v[0:1], v[68:69], v[0:1]
	v_add_f64_e32 v[2:3], v[70:71], v[2:3]
	s_delay_alu instid0(VALU_DEP_2) | instskip(NEXT) | instid1(VALU_DEP_2)
	v_add_f64_e32 v[60:61], v[60:61], v[0:1]
	v_add_f64_e32 v[62:63], v[62:63], v[2:3]
	;; [unrolled: 1-line block ×4, first 2 shown]
	s_delay_alu instid0(VALU_DEP_2) | instskip(NEXT) | instid1(VALU_DEP_2)
	v_add_f64_e32 v[0:1], v[0:1], v[28:29]
	v_add_f64_e32 v[2:3], v[2:3], v[30:31]
	s_delay_alu instid0(VALU_DEP_2) | instskip(NEXT) | instid1(VALU_DEP_2)
	v_add_f64_e32 v[0:1], v[0:1], v[36:37]
	v_add_f64_e32 v[2:3], v[2:3], v[38:39]
	;; [unrolled: 3-line block ×10, first 2 shown]
	v_and_b32_e32 v0, 0xffff, v207
	v_lshlrev_b32_e32 v1, 4, v255
	s_delay_alu instid0(VALU_DEP_2) | instskip(NEXT) | instid1(VALU_DEP_1)
	v_mul_u32_u24_e32 v0, 0xdd0, v0
	v_add3_u32 v0, 0, v0, v1
	ds_store_b128 v0, v[95:98] offset:544
	ds_store_b128 v0, v[99:102] offset:816
	;; [unrolled: 1-line block ×12, first 2 shown]
	ds_store_b128 v0, v[14:17]
	global_wb scope:SCOPE_SE
	s_wait_dscnt 0x0
	s_barrier_signal -1
	s_barrier_wait -1
	global_inv scope:SCOPE_SE
	ds_load_b128 v[16:19], v94
	ds_load_b128 v[12:15], v94 offset:816
	ds_load_b128 v[28:31], v94 offset:3536
	;; [unrolled: 1-line block ×11, first 2 shown]
	s_and_saveexec_b32 s1, s0
	s_cbranch_execz .LBB0_15
; %bb.14:
	ds_load_b128 v[8:11], v94 offset:3264
	ds_load_b128 v[0:3], v94 offset:6800
	;; [unrolled: 1-line block ×3, first 2 shown]
	s_wait_dscnt 0x1
	scratch_store_b128 off, v[0:3], off     ; 16-byte Folded Spill
.LBB0_15:
	s_wait_alu 0xfffe
	s_or_b32 exec_lo, exec_lo, s1
	s_and_saveexec_b32 s1, vcc_lo
	s_cbranch_execz .LBB0_18
; %bb.16:
	v_dual_mov_b32 v61, 0 :: v_dual_add_nc_u32 v62, 0x99, v208
	v_add_nc_u32_e32 v110, 0xdd, v208
	v_add_nc_u32_e32 v128, 0x66, v208
	;; [unrolled: 1-line block ×5, first 2 shown]
	v_mad_co_u64_u32 v[73:74], null, s16, v110, 0
	v_lshlrev_b32_e32 v60, 1, v62
	v_mul_lo_u32 v79, s2, v79
	s_delay_alu instid0(VALU_DEP_4) | instskip(SKIP_1) | instid1(VALU_DEP_4)
	v_mad_co_u64_u32 v[106:107], null, s16, v114, 0
	v_mul_hi_u32 v115, 0x288b0129, v62
	v_lshlrev_b64_e32 v[0:1], 4, v[60:61]
	v_lshlrev_b32_e32 v60, 1, v128
	s_mov_b32 s7, 0x3febb67a
	s_delay_alu instid0(VALU_DEP_1) | instskip(SKIP_1) | instid1(VALU_DEP_4)
	v_lshlrev_b64_e32 v[2:3], 4, v[60:61]
	v_lshlrev_b32_e32 v60, 1, v112
	v_add_co_u32 v0, vcc_lo, s4, v0
	s_wait_alu 0xfffd
	v_add_co_ci_u32_e32 v1, vcc_lo, s5, v1, vcc_lo
	s_delay_alu instid0(VALU_DEP_3)
	v_lshlrev_b64_e32 v[63:64], 4, v[60:61]
	v_lshlrev_b32_e32 v60, 1, v208
	v_add_co_u32 v2, vcc_lo, s4, v2
	s_wait_alu 0xfffd
	v_add_co_ci_u32_e32 v3, vcc_lo, s5, v3, vcc_lo
	s_clause 0x1
	global_load_b128 v[65:68], v[0:1], off offset:3280
	global_load_b128 v[69:72], v[0:1], off offset:3264
	v_lshlrev_b64_e32 v[0:1], 4, v[60:61]
	s_clause 0x1
	global_load_b128 v[80:83], v[2:3], off offset:3280
	global_load_b128 v[84:87], v[2:3], off offset:3264
	v_add_co_u32 v2, vcc_lo, s4, v63
	s_wait_alu 0xfffd
	v_add_co_ci_u32_e32 v3, vcc_lo, s5, v64, vcc_lo
	v_add_co_u32 v0, vcc_lo, s4, v0
	s_wait_alu 0xfffd
	v_add_co_ci_u32_e32 v1, vcc_lo, s5, v1, vcc_lo
	s_clause 0x3
	global_load_b128 v[88:91], v[2:3], off offset:3264
	global_load_b128 v[92:95], v[2:3], off offset:3280
	;; [unrolled: 1-line block ×4, first 2 shown]
	v_mad_co_u64_u32 v[2:3], null, s16, v208, 0
	v_mul_lo_u32 v60, s3, v78
	v_mad_co_u64_u32 v[0:1], null, s2, v78, 0
	v_lshlrev_b64_e32 v[63:64], 4, v[76:77]
	v_mad_co_u64_u32 v[77:78], null, s16, v112, 0
	s_wait_dscnt 0x0
	v_mad_co_u64_u32 v[108:109], null, s17, v208, v[3:4]
	v_mad_co_u64_u32 v[75:76], null, s16, v111, 0
	v_add_nc_u32_e32 v113, 0x110, v208
	s_delay_alu instid0(VALU_DEP_4) | instskip(SKIP_2) | instid1(VALU_DEP_4)
	v_dual_mov_b32 v3, v74 :: v_dual_mov_b32 v74, v78
	v_add3_u32 v1, v1, v79, v60
	v_mov_b32_e32 v78, v107
	v_mad_co_u64_u32 v[104:105], null, s16, v113, 0
	s_delay_alu instid0(VALU_DEP_4)
	v_mad_co_u64_u32 v[109:110], null, s17, v110, v[3:4]
	v_mov_b32_e32 v3, v108
	v_mul_hi_u32 v79, 0x288b0129, v128
	v_mov_b32_e32 v60, v76
	v_sub_nc_u32_e32 v107, v62, v115
	v_lshlrev_b64_e32 v[0:1], 4, v[0:1]
	v_lshlrev_b64_e32 v[2:3], 4, v[2:3]
	s_mov_b32 s2, 0xe8584caa
	v_mad_co_u64_u32 v[110:111], null, s17, v111, v[60:61]
	v_mad_co_u64_u32 v[111:112], null, s17, v112, v[74:75]
	v_lshrrev_b32_e32 v74, 1, v107
	v_mov_b32_e32 v76, v105
	v_sub_nc_u32_e32 v105, v128, v79
	s_mov_b32 s3, 0xbfebb67a
	s_wait_alu 0xfffe
	s_mov_b32 s6, s2
	v_mad_co_u64_u32 v[112:113], null, s17, v113, v[76:77]
	v_lshrrev_b32_e32 v60, 1, v105
	v_add_co_u32 v76, vcc_lo, s10, v0
	s_delay_alu instid0(VALU_DEP_2) | instskip(NEXT) | instid1(VALU_DEP_4)
	v_add_nc_u32_e32 v60, v60, v79
	v_mov_b32_e32 v105, v112
	s_delay_alu instid0(VALU_DEP_2) | instskip(NEXT) | instid1(VALU_DEP_2)
	v_lshrrev_b32_e32 v60, 7, v60
	v_lshlrev_b64_e32 v[104:105], 4, v[104:105]
	s_delay_alu instid0(VALU_DEP_2)
	v_mad_u32_u24 v108, 0x1ba, v60, v128
	s_wait_loadcnt 0x5
	v_mul_f64_e32 v[118:119], v[52:53], v[82:83]
	s_wait_loadcnt 0x4
	v_mul_f64_e32 v[116:117], v[44:45], v[86:87]
	v_mul_f64_e32 v[86:87], v[46:47], v[86:87]
	;; [unrolled: 1-line block ×3, first 2 shown]
	s_wait_loadcnt 0x3
	v_mul_f64_e32 v[120:121], v[56:57], v[90:91]
	s_wait_loadcnt 0x2
	v_mul_f64_e32 v[122:123], v[40:41], v[94:95]
	s_wait_loadcnt 0x1
	v_mul_f64_e32 v[124:125], v[28:29], v[98:99]
	s_wait_loadcnt 0x0
	v_mul_f64_e32 v[126:127], v[36:37], v[102:103]
	v_mul_f64_e32 v[102:103], v[38:39], v[102:103]
	v_mul_f64_e32 v[98:99], v[30:31], v[98:99]
	;; [unrolled: 1-line block ×4, first 2 shown]
	v_fma_f64 v[46:47], v[46:47], v[84:85], -v[116:117]
	v_fma_f64 v[44:45], v[44:45], v[84:85], v[86:87]
	v_fma_f64 v[52:53], v[52:53], v[80:81], v[82:83]
	v_fma_f64 v[42:43], v[42:43], v[92:93], -v[122:123]
	v_fma_f64 v[30:31], v[30:31], v[96:97], -v[124:125]
	;; [unrolled: 1-line block ×3, first 2 shown]
	v_fma_f64 v[36:37], v[36:37], v[100:101], v[102:103]
	v_add_nc_u32_e32 v103, 0x1ba, v108
	v_mad_co_u64_u32 v[113:114], null, s17, v114, v[78:79]
	v_add_nc_u32_e32 v79, v74, v115
	s_wait_alu 0xfffd
	v_add_co_ci_u32_e32 v78, vcc_lo, s11, v1, vcc_lo
	v_mul_f64_e32 v[0:1], v[32:33], v[71:72]
	v_mul_f64_e32 v[114:115], v[48:49], v[67:68]
	v_mul_f64_e32 v[71:72], v[34:35], v[71:72]
	v_mul_f64_e32 v[67:68], v[50:51], v[67:68]
	v_fma_f64 v[28:29], v[28:29], v[96:97], v[98:99]
	v_fma_f64 v[56:57], v[56:57], v[88:89], v[90:91]
	;; [unrolled: 1-line block ×3, first 2 shown]
	v_mov_b32_e32 v74, v109
	v_add_co_u32 v63, vcc_lo, v76, v63
	v_mov_b32_e32 v76, v110
	s_wait_alu 0xfffd
	v_add_co_ci_u32_e32 v64, vcc_lo, v78, v64, vcc_lo
	v_lshrrev_b32_e32 v79, 7, v79
	v_lshlrev_b64_e32 v[73:74], 4, v[73:74]
	v_mov_b32_e32 v78, v111
	v_lshlrev_b64_e32 v[75:76], 4, v[75:76]
	v_add_co_u32 v2, vcc_lo, v63, v2
	s_wait_alu 0xfffd
	v_add_co_ci_u32_e32 v3, vcc_lo, v64, v3, vcc_lo
	v_mad_u32_u24 v109, 0x1ba, v79, v62
	v_add_f64_e32 v[95:96], v[44:45], v[52:53]
	v_lshlrev_b64_e32 v[77:78], 4, v[77:78]
	v_add_co_u32 v73, vcc_lo, v63, v73
	s_wait_alu 0xfffd
	v_add_co_ci_u32_e32 v74, vcc_lo, v64, v74, vcc_lo
	v_add_nc_u32_e32 v102, 0xdd, v108
	v_add_f64_e64 v[110:111], v[44:45], -v[52:53]
	v_add_f64_e32 v[85:86], v[30:31], v[38:39]
	v_add_f64_e32 v[44:45], v[24:25], v[44:45]
	v_add_f64_e64 v[122:123], v[30:31], -v[38:39]
	v_mov_b32_e32 v107, v113
	v_add_f64_e32 v[112:113], v[26:27], v[46:47]
	v_add_nc_u32_e32 v126, 0x1ba, v109
	v_fma_f64 v[0:1], v[34:35], v[69:70], -v[0:1]
	v_fma_f64 v[34:35], v[50:51], v[65:66], -v[114:115]
	;; [unrolled: 1-line block ×4, first 2 shown]
	v_fma_f64 v[32:33], v[32:33], v[69:70], v[71:72]
	v_fma_f64 v[48:49], v[48:49], v[65:66], v[67:68]
	v_add_f64_e32 v[87:88], v[28:29], v[36:37]
	v_add_f64_e32 v[91:92], v[56:57], v[40:41]
	v_add_co_u32 v65, vcc_lo, v63, v75
	s_wait_alu 0xfffd
	v_add_co_ci_u32_e32 v66, vcc_lo, v64, v76, vcc_lo
	v_add_co_u32 v67, vcc_lo, v63, v77
	s_wait_alu 0xfffd
	v_add_co_ci_u32_e32 v68, vcc_lo, v64, v78, vcc_lo
	v_add_co_u32 v69, vcc_lo, v63, v104
	v_mad_co_u64_u32 v[71:72], null, s16, v109, 0
	s_wait_alu 0xfffd
	v_add_co_ci_u32_e32 v70, vcc_lo, v64, v105, vcc_lo
	v_add_nc_u32_e32 v105, 0xdd, v109
	v_mad_co_u64_u32 v[58:59], null, s16, v108, 0
	v_mad_co_u64_u32 v[75:76], null, s16, v102, 0
	s_delay_alu instid0(VALU_DEP_3)
	v_mad_co_u64_u32 v[89:90], null, s16, v105, 0
	v_mad_co_u64_u32 v[77:78], null, s16, v103, 0
	v_mov_b32_e32 v60, v72
	v_add_f64_e64 v[118:119], v[28:29], -v[36:37]
	v_add_f64_e32 v[120:121], v[18:19], v[30:31]
	v_add_f64_e32 v[28:29], v[16:17], v[28:29]
	v_fma_f64 v[85:86], v[85:86], -0.5, v[18:19]
	v_mad_co_u64_u32 v[99:100], null, s17, v108, v[59:60]
	v_mov_b32_e32 v59, v76
	v_add_f64_e32 v[79:80], v[0:1], v[34:35]
	v_add_f64_e32 v[81:82], v[46:47], v[50:51]
	;; [unrolled: 1-line block ×3, first 2 shown]
	v_mad_co_u64_u32 v[100:101], null, s17, v109, v[60:61]
	v_add_f64_e32 v[97:98], v[32:33], v[48:49]
	v_mov_b32_e32 v60, v90
	v_mov_b32_e32 v62, v78
	v_fma_f64 v[87:88], v[87:88], -0.5, v[16:17]
	v_add_f64_e64 v[114:115], v[56:57], -v[40:41]
	v_add_f64_e32 v[116:117], v[14:15], v[54:55]
	v_mad_co_u64_u32 v[101:102], null, s17, v102, v[59:60]
	v_add_f64_e32 v[56:57], v[12:13], v[56:57]
	v_mad_co_u64_u32 v[102:103], null, s17, v103, v[62:63]
	v_add_f64_e64 v[103:104], v[32:33], -v[48:49]
	v_add_f64_e32 v[32:33], v[20:21], v[32:33]
	v_add_f64_e64 v[54:55], v[54:55], -v[42:43]
	v_fma_f64 v[91:92], v[91:92], -0.5, v[12:13]
	v_add_f64_e64 v[124:125], v[46:47], -v[50:51]
	v_fma_f64 v[95:96], v[95:96], -0.5, v[24:25]
	v_add_f64_e32 v[108:109], v[22:23], v[0:1]
	v_add_f64_e64 v[0:1], v[0:1], -v[34:35]
	v_mad_co_u64_u32 v[93:94], null, s16, v126, 0
	v_mad_co_u64_u32 v[12:13], null, s17, v105, v[60:61]
	v_add_f64_e32 v[16:17], v[44:45], v[52:53]
	v_lshlrev_b64_e32 v[106:107], 4, v[106:107]
	v_add_f64_e32 v[18:19], v[112:113], v[50:51]
	v_dual_mov_b32 v59, v99 :: v_dual_mov_b32 v72, v94
	v_add_f64_e32 v[24:25], v[28:29], v[36:37]
	s_wait_alu 0xfffe
	v_fma_f64 v[46:47], v[118:119], s[6:7], v[85:86]
	v_mov_b32_e32 v90, v12
	v_add_co_u32 v99, vcc_lo, v63, v106
	v_fma_f64 v[79:80], v[79:80], -0.5, v[22:23]
	v_fma_f64 v[81:82], v[81:82], -0.5, v[26:27]
	;; [unrolled: 1-line block ×3, first 2 shown]
	v_mad_co_u64_u32 v[13:14], null, s17, v126, v[72:73]
	v_fma_f64 v[97:98], v[97:98], -0.5, v[20:21]
	v_add_f64_e32 v[26:27], v[120:121], v[38:39]
	v_lshlrev_b64_e32 v[105:106], 4, v[58:59]
	v_fma_f64 v[44:45], v[122:123], s[2:3], v[87:88]
	v_mov_b32_e32 v72, v100
	v_add_f64_e32 v[22:23], v[116:117], v[42:43]
	v_fma_f64 v[42:43], v[118:119], s[2:3], v[85:86]
	v_mov_b32_e32 v94, v13
	v_add_f64_e32 v[20:21], v[56:57], v[40:41]
	v_fma_f64 v[40:41], v[122:123], s[6:7], v[87:88]
	v_mov_b32_e32 v76, v101
	v_lshlrev_b64_e32 v[71:72], 4, v[71:72]
	v_add_f64_e32 v[12:13], v[32:33], v[48:49]
	v_mov_b32_e32 v78, v102
	v_fma_f64 v[48:49], v[54:55], s[2:3], v[91:92]
	v_fma_f64 v[36:37], v[54:55], s[6:7], v[91:92]
	;; [unrolled: 1-line block ×3, first 2 shown]
	v_add_f64_e32 v[14:15], v[108:109], v[34:35]
	v_fma_f64 v[32:33], v[124:125], s[6:7], v[95:96]
	s_wait_alu 0xfffd
	v_add_co_ci_u32_e32 v100, vcc_lo, v64, v107, vcc_lo
	v_lshlrev_b64_e32 v[75:76], 4, v[75:76]
	v_lshlrev_b64_e32 v[77:78], 4, v[77:78]
	v_fma_f64 v[58:59], v[103:104], s[6:7], v[79:80]
	v_fma_f64 v[54:55], v[110:111], s[6:7], v[81:82]
	;; [unrolled: 1-line block ×8, first 2 shown]
	v_add_co_u32 v81, vcc_lo, v63, v105
	s_wait_alu 0xfffd
	v_add_co_ci_u32_e32 v82, vcc_lo, v64, v106, vcc_lo
	v_add_co_u32 v71, vcc_lo, v63, v71
	s_wait_alu 0xfffd
	v_add_co_ci_u32_e32 v72, vcc_lo, v64, v72, vcc_lo
	v_lshlrev_b64_e32 v[0:1], 4, v[89:90]
	v_add_co_u32 v75, vcc_lo, v63, v75
	s_wait_alu 0xfffd
	v_add_co_ci_u32_e32 v76, vcc_lo, v64, v76, vcc_lo
	v_lshlrev_b64_e32 v[79:80], 4, v[93:94]
	v_add_co_u32 v77, vcc_lo, v63, v77
	s_wait_alu 0xfffd
	v_add_co_ci_u32_e32 v78, vcc_lo, v64, v78, vcc_lo
	v_add_co_u32 v0, vcc_lo, v63, v0
	s_wait_alu 0xfffd
	v_add_co_ci_u32_e32 v1, vcc_lo, v64, v1, vcc_lo
	;; [unrolled: 3-line block ×3, first 2 shown]
	s_clause 0xb
	global_store_b128 v[2:3], v[24:27], off
	global_store_b128 v[73:74], v[44:47], off
	;; [unrolled: 1-line block ×12, first 2 shown]
	s_and_b32 exec_lo, exec_lo, s0
	s_cbranch_execz .LBB0_18
; %bb.17:
	v_add_nc_u32_e32 v24, 0xcc, v208
	v_subrev_nc_u32_e32 v0, 17, v208
	v_add_nc_u32_e32 v26, 0x286, v208
	v_add_nc_u32_e32 v25, 0x1a9, v208
	s_delay_alu instid0(VALU_DEP_3) | instskip(NEXT) | instid1(VALU_DEP_1)
	v_cndmask_b32_e64 v0, v0, v24, s0
	v_lshlrev_b32_e32 v60, 1, v0
	s_delay_alu instid0(VALU_DEP_1) | instskip(NEXT) | instid1(VALU_DEP_1)
	v_lshlrev_b64_e32 v[0:1], 4, v[60:61]
	v_add_co_u32 v0, vcc_lo, s4, v0
	s_wait_alu 0xfffd
	s_delay_alu instid0(VALU_DEP_2)
	v_add_co_ci_u32_e32 v1, vcc_lo, s5, v1, vcc_lo
	s_clause 0x1
	global_load_b128 v[12:15], v[0:1], off offset:3264
	global_load_b128 v[16:19], v[0:1], off offset:3280
	scratch_load_b128 v[20:23], off, off th:TH_LOAD_LU ; 16-byte Folded Reload
	s_wait_loadcnt 0x1
	v_mul_f64_e32 v[2:3], v[6:7], v[18:19]
	s_wait_loadcnt 0x0
	v_mul_f64_e32 v[0:1], v[22:23], v[14:15]
	v_mul_f64_e32 v[14:15], v[20:21], v[14:15]
	;; [unrolled: 1-line block ×3, first 2 shown]
	s_delay_alu instid0(VALU_DEP_4) | instskip(NEXT) | instid1(VALU_DEP_4)
	v_fma_f64 v[2:3], v[4:5], v[16:17], v[2:3]
	v_fma_f64 v[0:1], v[20:21], v[12:13], v[0:1]
	s_delay_alu instid0(VALU_DEP_4) | instskip(NEXT) | instid1(VALU_DEP_4)
	v_fma_f64 v[4:5], v[22:23], v[12:13], -v[14:15]
	v_fma_f64 v[6:7], v[6:7], v[16:17], -v[18:19]
	v_mad_co_u64_u32 v[22:23], null, s16, v26, 0
	v_mad_co_u64_u32 v[20:21], null, s16, v25, 0
	v_add_f64_e32 v[12:13], v[0:1], v[2:3]
	v_add_f64_e32 v[16:17], v[8:9], v[0:1]
	;; [unrolled: 1-line block ×3, first 2 shown]
	v_add_f64_e64 v[18:19], v[4:5], -v[6:7]
	v_add_f64_e32 v[4:5], v[10:11], v[4:5]
	v_fma_f64 v[8:9], v[12:13], -0.5, v[8:9]
	v_add_f64_e64 v[12:13], v[0:1], -v[2:3]
	v_fma_f64 v[10:11], v[14:15], -0.5, v[10:11]
	v_add_f64_e32 v[0:1], v[16:17], v[2:3]
	v_add_f64_e32 v[2:3], v[4:5], v[6:7]
	v_fma_f64 v[4:5], v[18:19], s[2:3], v[8:9]
	v_fma_f64 v[8:9], v[18:19], s[6:7], v[8:9]
	;; [unrolled: 1-line block ×4, first 2 shown]
	v_mov_b32_e32 v13, v23
	v_mad_co_u64_u32 v[14:15], null, s16, v24, 0
	v_mov_b32_e32 v12, v21
	s_delay_alu instid0(VALU_DEP_2) | instskip(NEXT) | instid1(VALU_DEP_2)
	v_mad_co_u64_u32 v[15:16], null, s17, v24, v[15:16]
	v_mad_co_u64_u32 v[16:17], null, s17, v25, v[12:13]
	s_delay_alu instid0(VALU_DEP_4) | instskip(NEXT) | instid1(VALU_DEP_2)
	v_mad_co_u64_u32 v[12:13], null, s17, v26, v[13:14]
	v_mov_b32_e32 v21, v16
	s_delay_alu instid0(VALU_DEP_2) | instskip(SKIP_1) | instid1(VALU_DEP_3)
	v_mov_b32_e32 v23, v12
	v_lshlrev_b64_e32 v[12:13], 4, v[14:15]
	v_lshlrev_b64_e32 v[14:15], 4, v[20:21]
	s_delay_alu instid0(VALU_DEP_3) | instskip(NEXT) | instid1(VALU_DEP_3)
	v_lshlrev_b64_e32 v[16:17], 4, v[22:23]
	v_add_co_u32 v12, vcc_lo, v63, v12
	s_wait_alu 0xfffd
	s_delay_alu instid0(VALU_DEP_4) | instskip(NEXT) | instid1(VALU_DEP_4)
	v_add_co_ci_u32_e32 v13, vcc_lo, v64, v13, vcc_lo
	v_add_co_u32 v14, vcc_lo, v63, v14
	s_wait_alu 0xfffd
	v_add_co_ci_u32_e32 v15, vcc_lo, v64, v15, vcc_lo
	v_add_co_u32 v16, vcc_lo, v63, v16
	s_wait_alu 0xfffd
	v_add_co_ci_u32_e32 v17, vcc_lo, v64, v17, vcc_lo
	s_clause 0x2
	global_store_b128 v[12:13], v[0:3], off
	global_store_b128 v[14:15], v[4:7], off
	global_store_b128 v[16:17], v[8:11], off
.LBB0_18:
	s_endpgm
	.section	.rodata,"a",@progbits
	.p2align	6, 0x0
	.amdhsa_kernel fft_rtc_back_len663_factors_17_13_3_wgs_51_tpt_51_dp_op_CI_CI_sbrr_dirReg
		.amdhsa_group_segment_fixed_size 0
		.amdhsa_private_segment_fixed_size 20
		.amdhsa_kernarg_size 104
		.amdhsa_user_sgpr_count 2
		.amdhsa_user_sgpr_dispatch_ptr 0
		.amdhsa_user_sgpr_queue_ptr 0
		.amdhsa_user_sgpr_kernarg_segment_ptr 1
		.amdhsa_user_sgpr_dispatch_id 0
		.amdhsa_user_sgpr_private_segment_size 0
		.amdhsa_wavefront_size32 1
		.amdhsa_uses_dynamic_stack 0
		.amdhsa_enable_private_segment 1
		.amdhsa_system_sgpr_workgroup_id_x 1
		.amdhsa_system_sgpr_workgroup_id_y 0
		.amdhsa_system_sgpr_workgroup_id_z 0
		.amdhsa_system_sgpr_workgroup_info 0
		.amdhsa_system_vgpr_workitem_id 0
		.amdhsa_next_free_vgpr 256
		.amdhsa_next_free_sgpr 58
		.amdhsa_reserve_vcc 1
		.amdhsa_float_round_mode_32 0
		.amdhsa_float_round_mode_16_64 0
		.amdhsa_float_denorm_mode_32 3
		.amdhsa_float_denorm_mode_16_64 3
		.amdhsa_fp16_overflow 0
		.amdhsa_workgroup_processor_mode 1
		.amdhsa_memory_ordered 1
		.amdhsa_forward_progress 0
		.amdhsa_round_robin_scheduling 0
		.amdhsa_exception_fp_ieee_invalid_op 0
		.amdhsa_exception_fp_denorm_src 0
		.amdhsa_exception_fp_ieee_div_zero 0
		.amdhsa_exception_fp_ieee_overflow 0
		.amdhsa_exception_fp_ieee_underflow 0
		.amdhsa_exception_fp_ieee_inexact 0
		.amdhsa_exception_int_div_zero 0
	.end_amdhsa_kernel
	.text
.Lfunc_end0:
	.size	fft_rtc_back_len663_factors_17_13_3_wgs_51_tpt_51_dp_op_CI_CI_sbrr_dirReg, .Lfunc_end0-fft_rtc_back_len663_factors_17_13_3_wgs_51_tpt_51_dp_op_CI_CI_sbrr_dirReg
                                        ; -- End function
	.section	.AMDGPU.csdata,"",@progbits
; Kernel info:
; codeLenInByte = 13796
; NumSgprs: 60
; NumVgprs: 256
; ScratchSize: 20
; MemoryBound: 1
; FloatMode: 240
; IeeeMode: 1
; LDSByteSize: 0 bytes/workgroup (compile time only)
; SGPRBlocks: 7
; VGPRBlocks: 31
; NumSGPRsForWavesPerEU: 60
; NumVGPRsForWavesPerEU: 256
; Occupancy: 5
; WaveLimiterHint : 1
; COMPUTE_PGM_RSRC2:SCRATCH_EN: 1
; COMPUTE_PGM_RSRC2:USER_SGPR: 2
; COMPUTE_PGM_RSRC2:TRAP_HANDLER: 0
; COMPUTE_PGM_RSRC2:TGID_X_EN: 1
; COMPUTE_PGM_RSRC2:TGID_Y_EN: 0
; COMPUTE_PGM_RSRC2:TGID_Z_EN: 0
; COMPUTE_PGM_RSRC2:TIDIG_COMP_CNT: 0
	.text
	.p2alignl 7, 3214868480
	.fill 96, 4, 3214868480
	.type	__hip_cuid_b92e31e077408f20,@object ; @__hip_cuid_b92e31e077408f20
	.section	.bss,"aw",@nobits
	.globl	__hip_cuid_b92e31e077408f20
__hip_cuid_b92e31e077408f20:
	.byte	0                               ; 0x0
	.size	__hip_cuid_b92e31e077408f20, 1

	.ident	"AMD clang version 19.0.0git (https://github.com/RadeonOpenCompute/llvm-project roc-6.4.0 25133 c7fe45cf4b819c5991fe208aaa96edf142730f1d)"
	.section	".note.GNU-stack","",@progbits
	.addrsig
	.addrsig_sym __hip_cuid_b92e31e077408f20
	.amdgpu_metadata
---
amdhsa.kernels:
  - .args:
      - .actual_access:  read_only
        .address_space:  global
        .offset:         0
        .size:           8
        .value_kind:     global_buffer
      - .offset:         8
        .size:           8
        .value_kind:     by_value
      - .actual_access:  read_only
        .address_space:  global
        .offset:         16
        .size:           8
        .value_kind:     global_buffer
      - .actual_access:  read_only
        .address_space:  global
        .offset:         24
        .size:           8
        .value_kind:     global_buffer
      - .actual_access:  read_only
        .address_space:  global
        .offset:         32
        .size:           8
        .value_kind:     global_buffer
      - .offset:         40
        .size:           8
        .value_kind:     by_value
      - .actual_access:  read_only
        .address_space:  global
        .offset:         48
        .size:           8
        .value_kind:     global_buffer
      - .actual_access:  read_only
        .address_space:  global
        .offset:         56
        .size:           8
        .value_kind:     global_buffer
      - .offset:         64
        .size:           4
        .value_kind:     by_value
      - .actual_access:  read_only
        .address_space:  global
        .offset:         72
        .size:           8
        .value_kind:     global_buffer
      - .actual_access:  read_only
        .address_space:  global
        .offset:         80
        .size:           8
        .value_kind:     global_buffer
      - .actual_access:  read_only
        .address_space:  global
        .offset:         88
        .size:           8
        .value_kind:     global_buffer
      - .actual_access:  write_only
        .address_space:  global
        .offset:         96
        .size:           8
        .value_kind:     global_buffer
    .group_segment_fixed_size: 0
    .kernarg_segment_align: 8
    .kernarg_segment_size: 104
    .language:       OpenCL C
    .language_version:
      - 2
      - 0
    .max_flat_workgroup_size: 51
    .name:           fft_rtc_back_len663_factors_17_13_3_wgs_51_tpt_51_dp_op_CI_CI_sbrr_dirReg
    .private_segment_fixed_size: 20
    .sgpr_count:     60
    .sgpr_spill_count: 0
    .symbol:         fft_rtc_back_len663_factors_17_13_3_wgs_51_tpt_51_dp_op_CI_CI_sbrr_dirReg.kd
    .uniform_work_group_size: 1
    .uses_dynamic_stack: false
    .vgpr_count:     256
    .vgpr_spill_count: 8
    .wavefront_size: 32
    .workgroup_processor_mode: 1
amdhsa.target:   amdgcn-amd-amdhsa--gfx1201
amdhsa.version:
  - 1
  - 2
...

	.end_amdgpu_metadata
